;; amdgpu-corpus repo=zjin-lcf/HeCBench kind=compiled arch=gfx1250 opt=O3
	.amdgcn_target "amdgcn-amd-amdhsa--gfx1250"
	.amdhsa_code_object_version 6
	.section	.text._Z15compressKernelIIjEvPKT_jPjS3_PhS4_i,"axG",@progbits,_Z15compressKernelIIjEvPKT_jPjS3_PhS4_i,comdat
	.protected	_Z15compressKernelIIjEvPKT_jPjS3_PhS4_i ; -- Begin function _Z15compressKernelIIjEvPKT_jPjS3_PhS4_i
	.globl	_Z15compressKernelIIjEvPKT_jPjS3_PhS4_i
	.p2align	8
	.type	_Z15compressKernelIIjEvPKT_jPjS3_PhS4_i,@function
_Z15compressKernelIIjEvPKT_jPjS3_PhS4_i: ; @_Z15compressKernelIIjEvPKT_jPjS3_PhS4_i
; %bb.0:
	s_bfe_u32 s4, ttmp6, 0x4000c
	s_load_b64 s[2:3], s[0:1], 0x0
	s_add_co_i32 s4, s4, 1
	s_and_b32 s5, ttmp6, 15
	s_mul_i32 s4, ttmp9, s4
	s_getreg_b32 s6, hwreg(HW_REG_IB_STS2, 6, 4)
	s_add_co_i32 s5, s5, s4
	s_cmp_eq_u32 s6, 0
	s_load_b256 s[8:15], s[0:1], 0x10
	s_cselect_b32 s16, ttmp9, s5
	v_cmp_gt_u32_e32 vcc_lo, 0x200, v0
	v_lshl_add_u32 v1, s16, 9, v0
	v_dual_mov_b32 v9, 0 :: v_dual_mov_b32 v7, 0
	s_delay_alu instid0(VALU_DEP_2)
	v_add_nc_u32_e32 v2, 0x80, v1
	v_add_nc_u32_e32 v3, 0x100, v1
	;; [unrolled: 1-line block ×3, first 2 shown]
	s_wait_kmcnt 0x0
	s_clause 0x3
	global_load_b32 v5, v1, s[2:3] scale_offset
	global_load_b32 v6, v2, s[2:3] scale_offset
	;; [unrolled: 1-line block ×4, first 2 shown]
	s_wait_xcnt 0x1
	v_sub_nc_u32_e64 v3, v0, 32 clamp
	v_dual_mov_b32 v2, 0 :: v_dual_lshlrev_b32 v1, 2, v0
	s_wait_xcnt 0x0
	s_mov_b32 s3, 0
	s_delay_alu instid0(VALU_DEP_2) | instskip(NEXT) | instid1(VALU_DEP_2)
	v_cmp_lt_u32_e64 s2, v3, v0
	v_dual_mov_b32 v3, 0 :: v_dual_add_nc_u32 v4, 16, v1
	s_wait_loadcnt 0x2
	ds_store_2addr_stride64_b32 v4, v5, v6 offset0:8 offset1:10
	s_wait_loadcnt 0x0
	ds_store_2addr_stride64_b32 v4, v8, v10 offset0:12 offset1:14
	s_and_b32 s2, s2, vcc_lo
	s_wait_dscnt 0x0
	s_barrier_signal -1
	s_barrier_wait -1
	s_and_saveexec_b32 s4, s2
	s_cbranch_execz .LBB0_8
; %bb.1:
	v_min_u32_e32 v4, 32, v0
	v_dual_mov_b32 v8, v0 :: v_dual_mov_b32 v11, 0
	v_dual_mov_b32 v2, 0 :: v_dual_mov_b32 v10, 0
	s_delay_alu instid0(VALU_DEP_3) | instskip(NEXT) | instid1(VALU_DEP_1)
	v_dual_lshlrev_b32 v3, 2, v4 :: v_dual_sub_nc_u32 v5, v0, v4
	v_dual_sub_nc_u32 v4, v4, v0 :: v_dual_sub_nc_u32 v6, v1, v3
	s_delay_alu instid0(VALU_DEP_2) | instskip(NEXT) | instid1(VALU_DEP_2)
	v_dual_mov_b32 v3, 0 :: v_dual_add_nc_u32 v5, 1, v5
	v_add_nc_u32_e32 v6, 0x810, v6
	s_branch .LBB0_3
.LBB0_2:                                ;   in Loop: Header=BB0_3 Depth=1
	s_or_b32 exec_lo, exec_lo, s2
	v_cmp_ge_u32_e32 vcc_lo, v5, v0
	s_delay_alu instid0(VALU_DEP_2)
	v_cmp_lt_u32_e64 s2, 0x1ff, v12
	v_dual_add_nc_u32 v5, 1, v5 :: v_dual_add_nc_u32 v4, -1, v4
	v_dual_add_nc_u32 v6, 4, v6 :: v_dual_mov_b32 v8, v12
	s_or_b32 s2, vcc_lo, s2
	v_dual_mov_b32 v11, v9 :: v_dual_mov_b32 v10, v7
	s_and_b32 s2, exec_lo, s2
	s_delay_alu instid0(SALU_CYCLE_1) | instskip(NEXT) | instid1(SALU_CYCLE_1)
	s_or_b32 s3, s2, s3
	s_and_not1_b32 exec_lo, exec_lo, s3
	s_cbranch_execz .LBB0_7
.LBB0_3:                                ; =>This Inner Loop Header: Depth=1
	v_lshlrev_b32_e32 v7, 2, v8
	s_mov_b32 s2, exec_lo
	ds_load_b32 v7, v7 offset:2064
	ds_load_b32 v9, v6
	s_wait_dscnt 0x0
	v_cmpx_ne_u32_e64 v7, v9
	s_xor_b32 s2, exec_lo, s2
; %bb.4:                                ;   in Loop: Header=BB0_3 Depth=1
	v_and_b32_e32 v2, 0xff, v2
	v_and_b32_e32 v7, 0xff, v11
                                        ; implicit-def: $vgpr8
                                        ; implicit-def: $vgpr11
	s_delay_alu instid0(VALU_DEP_1)
	v_cmp_gt_u16_e32 vcc_lo, v7, v2
	v_max_u16 v2, v7, v2
	v_cndmask_b32_e32 v3, v3, v10, vcc_lo
                                        ; implicit-def: $vgpr10
; %bb.5:                                ;   in Loop: Header=BB0_3 Depth=1
	s_or_saveexec_b32 s2, s2
	v_dual_mov_b32 v7, 0 :: v_dual_mov_b32 v9, 0
	v_mov_b32_e32 v12, v0
	s_xor_b32 exec_lo, exec_lo, s2
	s_cbranch_execz .LBB0_2
; %bb.6:                                ;   in Loop: Header=BB0_3 Depth=1
	v_and_b32_e32 v7, 0xff, v10
	v_add_nc_u32_e32 v12, v8, v4
	v_add_nc_u16 v9, v11, 1
	s_delay_alu instid0(VALU_DEP_3) | instskip(NEXT) | instid1(VALU_DEP_3)
	v_cmp_eq_u16_e32 vcc_lo, 0, v7
	v_cndmask_b32_e32 v7, v10, v12, vcc_lo
	v_add_nc_u32_e32 v12, 1, v8
	s_branch .LBB0_2
.LBB0_7:
	s_or_b32 exec_lo, exec_lo, s3
.LBB0_8:
	s_delay_alu instid0(SALU_CYCLE_1)
	s_or_b32 exec_lo, exec_lo, s4
	v_and_b32_e32 v2, 0xff, v2
	v_and_b32_e32 v5, 0xff, v9
	v_dual_mov_b32 v6, 0 :: v_dual_mov_b32 v9, 0
	s_mov_b32 s3, exec_lo
	v_mov_b32_e32 v11, 0
	s_delay_alu instid0(VALU_DEP_3)
	v_cmp_gt_u16_e32 vcc_lo, v5, v2
	v_add_nc_u32_e32 v4, 0x810, v1
	v_max_u16 v5, v5, v2
	v_dual_cndmask_b32 v3, v3, v7 :: v_dual_add_nc_u32 v2, 0x80, v0
	v_mov_b32_e32 v7, 0
	ds_store_b8 v0, v5 offset:4112
	ds_store_b8 v0, v3 offset:4624
	ds_store_b32 v1, v6
	v_cmpx_gt_u32_e32 0x180, v0
	s_cbranch_execz .LBB0_16
; %bb.9:
	v_dual_mov_b32 v6, 0 :: v_dual_add_nc_u32 v3, 0x61, v0
	v_dual_mov_b32 v10, v2 :: v_dual_sub_nc_u32 v5, 0xffffffa0, v0
	v_lshl_add_u32 v8, v0, 2, 0x990
	v_dual_mov_b32 v7, 0 :: v_dual_mov_b32 v13, 0
	v_mov_b32_e32 v12, 0
	s_mov_b32 s4, 0
	s_branch .LBB0_11
.LBB0_10:                               ;   in Loop: Header=BB0_11 Depth=1
	s_or_b32 exec_lo, exec_lo, s2
	v_cmp_ge_u32_e32 vcc_lo, v3, v2
	s_delay_alu instid0(VALU_DEP_2)
	v_cmp_lt_u32_e64 s2, 0x1ff, v14
	v_dual_add_nc_u32 v3, 1, v3 :: v_dual_add_nc_u32 v5, -1, v5
	v_dual_add_nc_u32 v8, 4, v8 :: v_dual_mov_b32 v10, v14
	s_or_b32 s2, vcc_lo, s2
	v_dual_mov_b32 v13, v11 :: v_dual_mov_b32 v12, v9
	s_and_b32 s2, exec_lo, s2
	s_delay_alu instid0(SALU_CYCLE_1) | instskip(NEXT) | instid1(SALU_CYCLE_1)
	s_or_b32 s4, s2, s4
	s_and_not1_b32 exec_lo, exec_lo, s4
	s_cbranch_execz .LBB0_15
.LBB0_11:                               ; =>This Inner Loop Header: Depth=1
	v_lshlrev_b32_e32 v9, 2, v10
	s_mov_b32 s2, exec_lo
	ds_load_b32 v9, v9 offset:2064
	ds_load_b32 v11, v8
	s_wait_dscnt 0x0
	v_cmpx_ne_u32_e64 v9, v11
	s_xor_b32 s2, exec_lo, s2
; %bb.12:                               ;   in Loop: Header=BB0_11 Depth=1
	v_and_b32_e32 v6, 0xff, v6
	v_and_b32_e32 v9, 0xff, v13
                                        ; implicit-def: $vgpr10
                                        ; implicit-def: $vgpr13
	s_delay_alu instid0(VALU_DEP_1)
	v_cmp_gt_u16_e32 vcc_lo, v9, v6
	v_max_u16 v6, v9, v6
	v_cndmask_b32_e32 v7, v7, v12, vcc_lo
                                        ; implicit-def: $vgpr12
; %bb.13:                               ;   in Loop: Header=BB0_11 Depth=1
	s_or_saveexec_b32 s2, s2
	v_dual_mov_b32 v9, 0 :: v_dual_mov_b32 v11, 0
	v_mov_b32_e32 v14, v2
	s_xor_b32 exec_lo, exec_lo, s2
	s_cbranch_execz .LBB0_10
; %bb.14:                               ;   in Loop: Header=BB0_11 Depth=1
	v_and_b32_e32 v9, 0xff, v12
	v_add_nc_u32_e32 v14, v10, v5
	v_add_nc_u16 v11, v13, 1
	s_delay_alu instid0(VALU_DEP_3) | instskip(NEXT) | instid1(VALU_DEP_3)
	v_cmp_eq_u16_e32 vcc_lo, 0, v9
	v_cndmask_b32_e32 v9, v12, v14, vcc_lo
	v_add_nc_u32_e32 v14, 1, v10
	s_branch .LBB0_10
.LBB0_15:
	s_or_b32 exec_lo, exec_lo, s4
.LBB0_16:
	s_delay_alu instid0(SALU_CYCLE_1)
	s_or_b32 exec_lo, exec_lo, s3
	v_and_b32_e32 v6, 0xff, v6
	v_and_b32_e32 v8, 0xff, v11
	v_add_nc_u32_e32 v5, 0x1210, v0
	v_cmp_gt_u32_e64 s2, 0x100, v0
	v_dual_mov_b32 v13, 0 :: v_dual_mov_b32 v11, 0
	s_delay_alu instid0(VALU_DEP_4)
	v_cmp_gt_u16_e32 vcc_lo, v8, v6
	v_mov_b32_e32 v3, 0
	v_max_u16 v8, v8, v6
	v_dual_mov_b32 v6, 0 :: v_dual_cndmask_b32 v7, v7, v9
	ds_store_b8 v0, v8 offset:4240
	ds_store_b8 v0, v7 offset:4752
	ds_store_b32 v1, v3 offset:512
	s_and_saveexec_b32 s4, s2
	s_cbranch_execz .LBB0_24
; %bb.17:
	v_dual_mov_b32 v6, 0 :: v_dual_add_nc_u32 v7, 0x100, v0
	v_dual_mov_b32 v3, 0 :: v_dual_add_nc_u32 v8, 0xe1, v0
	s_delay_alu instid0(VALU_DEP_2)
	v_dual_mov_b32 v12, v7 :: v_dual_sub_nc_u32 v9, 0xffffff20, v0
	v_lshl_add_u32 v10, v0, 2, 0xb90
	v_dual_mov_b32 v15, 0 :: v_dual_mov_b32 v14, 0
	s_mov_b32 s5, 0
	s_branch .LBB0_19
.LBB0_18:                               ;   in Loop: Header=BB0_19 Depth=1
	s_or_b32 exec_lo, exec_lo, s3
	v_cmp_ge_u32_e32 vcc_lo, v8, v7
	s_delay_alu instid0(VALU_DEP_2)
	v_cmp_lt_u32_e64 s3, 0x1ff, v16
	v_dual_add_nc_u32 v8, 1, v8 :: v_dual_add_nc_u32 v9, -1, v9
	v_dual_add_nc_u32 v10, 4, v10 :: v_dual_mov_b32 v12, v16
	s_or_b32 s3, vcc_lo, s3
	v_dual_mov_b32 v15, v13 :: v_dual_mov_b32 v14, v11
	s_and_b32 s3, exec_lo, s3
	s_delay_alu instid0(SALU_CYCLE_1) | instskip(NEXT) | instid1(SALU_CYCLE_1)
	s_or_b32 s5, s3, s5
	s_and_not1_b32 exec_lo, exec_lo, s5
	s_cbranch_execz .LBB0_23
.LBB0_19:                               ; =>This Inner Loop Header: Depth=1
	v_lshlrev_b32_e32 v11, 2, v12
	s_mov_b32 s3, exec_lo
	ds_load_b32 v11, v11 offset:2064
	ds_load_b32 v13, v10
	s_wait_dscnt 0x0
	v_cmpx_ne_u32_e64 v11, v13
	s_xor_b32 s3, exec_lo, s3
; %bb.20:                               ;   in Loop: Header=BB0_19 Depth=1
	v_and_b32_e32 v3, 0xff, v3
	v_and_b32_e32 v11, 0xff, v15
                                        ; implicit-def: $vgpr12
                                        ; implicit-def: $vgpr15
	s_delay_alu instid0(VALU_DEP_1)
	v_cmp_gt_u16_e32 vcc_lo, v11, v3
	v_max_u16 v3, v11, v3
	v_cndmask_b32_e32 v6, v6, v14, vcc_lo
                                        ; implicit-def: $vgpr14
; %bb.21:                               ;   in Loop: Header=BB0_19 Depth=1
	s_or_saveexec_b32 s3, s3
	v_dual_mov_b32 v11, 0 :: v_dual_mov_b32 v13, 0
	v_mov_b32_e32 v16, v7
	s_xor_b32 exec_lo, exec_lo, s3
	s_cbranch_execz .LBB0_18
; %bb.22:                               ;   in Loop: Header=BB0_19 Depth=1
	v_and_b32_e32 v11, 0xff, v14
	v_add_nc_u32_e32 v16, v12, v9
	v_add_nc_u16 v13, v15, 1
	s_delay_alu instid0(VALU_DEP_3) | instskip(NEXT) | instid1(VALU_DEP_3)
	v_cmp_eq_u16_e32 vcc_lo, 0, v11
	v_cndmask_b32_e32 v11, v14, v16, vcc_lo
	v_add_nc_u32_e32 v16, 1, v12
	s_branch .LBB0_18
.LBB0_23:
	s_or_b32 exec_lo, exec_lo, s5
.LBB0_24:
	s_delay_alu instid0(SALU_CYCLE_1) | instskip(SKIP_4) | instid1(VALU_DEP_3)
	s_or_b32 exec_lo, exec_lo, s4
	v_and_b32_e32 v7, 0xff, v3
	v_and_b32_e32 v8, 0xff, v13
	v_cmp_gt_u32_e64 s3, 0x80, v0
	v_mov_b32_e32 v13, 0
	v_cmp_gt_u16_e32 vcc_lo, v8, v7
	v_mov_b32_e32 v3, 0
	v_max_u16 v7, v8, v7
	v_dual_cndmask_b32 v9, v6, v11 :: v_dual_mov_b32 v6, 0
	v_mov_b32_e32 v11, 0
	ds_store_b8 v0, v7 offset:4368
	ds_store_b8 v0, v9 offset:4880
	ds_store_b32 v1, v3 offset:1024
	s_and_saveexec_b32 s5, s3
	s_cbranch_execz .LBB0_32
; %bb.25:
	v_dual_mov_b32 v6, 0 :: v_dual_add_nc_u32 v7, 0x180, v0
	v_dual_mov_b32 v3, 0 :: v_dual_add_nc_u32 v8, 0x161, v0
	s_delay_alu instid0(VALU_DEP_2)
	v_dual_mov_b32 v12, v7 :: v_dual_sub_nc_u32 v9, 0xfffffea0, v0
	v_lshl_add_u32 v10, v0, 2, 0xd90
	v_dual_mov_b32 v15, 0 :: v_dual_mov_b32 v14, 0
	s_mov_b32 s6, 0
	s_branch .LBB0_27
.LBB0_26:                               ;   in Loop: Header=BB0_27 Depth=1
	s_or_b32 exec_lo, exec_lo, s4
	v_cmp_ge_u32_e32 vcc_lo, v8, v7
	s_delay_alu instid0(VALU_DEP_2)
	v_cmp_lt_u32_e64 s4, 0x1ff, v16
	v_dual_add_nc_u32 v8, 1, v8 :: v_dual_add_nc_u32 v9, -1, v9
	v_dual_add_nc_u32 v10, 4, v10 :: v_dual_mov_b32 v12, v16
	s_or_b32 s4, vcc_lo, s4
	v_dual_mov_b32 v15, v13 :: v_dual_mov_b32 v14, v11
	s_and_b32 s4, exec_lo, s4
	s_delay_alu instid0(SALU_CYCLE_1) | instskip(NEXT) | instid1(SALU_CYCLE_1)
	s_or_b32 s6, s4, s6
	s_and_not1_b32 exec_lo, exec_lo, s6
	s_cbranch_execz .LBB0_31
.LBB0_27:                               ; =>This Inner Loop Header: Depth=1
	v_lshlrev_b32_e32 v11, 2, v12
	s_mov_b32 s4, exec_lo
	ds_load_b32 v11, v11 offset:2064
	ds_load_b32 v13, v10
	s_wait_dscnt 0x0
	v_cmpx_ne_u32_e64 v11, v13
	s_xor_b32 s4, exec_lo, s4
; %bb.28:                               ;   in Loop: Header=BB0_27 Depth=1
	v_and_b32_e32 v3, 0xff, v3
	v_and_b32_e32 v11, 0xff, v15
                                        ; implicit-def: $vgpr12
                                        ; implicit-def: $vgpr15
	s_delay_alu instid0(VALU_DEP_1)
	v_cmp_gt_u16_e32 vcc_lo, v11, v3
	v_max_u16 v3, v11, v3
	v_cndmask_b32_e32 v6, v6, v14, vcc_lo
                                        ; implicit-def: $vgpr14
; %bb.29:                               ;   in Loop: Header=BB0_27 Depth=1
	s_or_saveexec_b32 s4, s4
	v_dual_mov_b32 v11, 0 :: v_dual_mov_b32 v13, 0
	v_mov_b32_e32 v16, v7
	s_xor_b32 exec_lo, exec_lo, s4
	s_cbranch_execz .LBB0_26
; %bb.30:                               ;   in Loop: Header=BB0_27 Depth=1
	v_and_b32_e32 v11, 0xff, v14
	v_add_nc_u32_e32 v16, v12, v9
	v_add_nc_u16 v13, v15, 1
	s_delay_alu instid0(VALU_DEP_3) | instskip(NEXT) | instid1(VALU_DEP_3)
	v_cmp_eq_u16_e32 vcc_lo, 0, v11
	v_cndmask_b32_e32 v11, v14, v16, vcc_lo
	v_add_nc_u32_e32 v16, 1, v12
	s_branch .LBB0_26
.LBB0_31:
	s_or_b32 exec_lo, exec_lo, s6
.LBB0_32:
	s_delay_alu instid0(SALU_CYCLE_1)
	s_or_b32 exec_lo, exec_lo, s5
	s_load_b32 s17, s[0:1], 0x30
	v_and_b32_e32 v3, 0xff, v3
	v_and_b32_e32 v7, 0xff, v13
	s_wait_xcnt 0x0
	v_cmp_eq_u32_e64 s0, 0, v0
	s_delay_alu instid0(VALU_DEP_2)
	v_cmp_gt_u16_e32 vcc_lo, v7, v3
	v_max_u16 v8, v7, v3
	v_dual_cndmask_b32 v3, v6, v11 :: v_dual_mov_b32 v6, 0
	ds_store_b8 v0, v8 offset:4496
	ds_store_b8 v0, v3 offset:5008
	ds_store_b32 v1, v6 offset:1536
	s_wait_dscnt 0x0
	s_barrier_signal -1
	s_barrier_wait -1
	s_and_saveexec_b32 s1, s0
	s_cbranch_execz .LBB0_47
; %bb.33:
	s_mov_b32 s6, 0
	s_mov_b32 s4, 0
.LBB0_34:                               ; =>This Inner Loop Header: Depth=1
	v_mov_b32_e32 v3, s6
	ds_load_u8 v3, v3 offset:4112
	s_wait_dscnt 0x0
	v_readfirstlane_b32 s5, v3
	s_wait_kmcnt 0x0
	s_cmp_le_i32 s17, s5
	s_cselect_b32 s7, -1, 0
	s_delay_alu instid0(SALU_CYCLE_1)
	v_cndmask_b32_e64 v3, 0, 1, s7
	s_and_b32 s7, s7, exec_lo
	s_cselect_b32 s7, s5, 1
	s_cselect_b32 s18, 2, 4
	s_lshl_b32 s19, s6, 2
	v_readfirstlane_b32 s5, v3
	v_dual_mov_b32 v3, s19 :: v_dual_mov_b32 v6, s18
	s_add_co_i32 s6, s6, s7
	s_mov_b32 s18, -1
	s_cmp_gt_u32 s6, 0x1ff
	ds_store_b32 v3, v6
	s_cbranch_scc1 .LBB0_43
; %bb.35:                               ;   in Loop: Header=BB0_34 Depth=1
	v_mov_b32_e32 v3, s6
	s_or_b32 s20, s5, 2
	ds_load_u8 v3, v3 offset:4112
	s_wait_dscnt 0x0
	v_readfirstlane_b32 s18, v3
	s_cmp_gt_i32 s17, s18
	s_cselect_b32 s21, 4, 2
	s_cselect_b32 s5, s5, s20
	s_cselect_b32 s18, 1, s18
	s_lshl_b32 s7, s7, 2
	v_mov_b32_e32 v6, s21
	s_add_co_i32 s19, s19, s7
	s_add_co_i32 s7, s6, s18
	v_mov_b32_e32 v3, s19
	s_cmp_lt_u32 s7, 0x200
	ds_store_b32 v3, v6
	s_cbranch_scc0 .LBB0_42
; %bb.36:                               ;   in Loop: Header=BB0_34 Depth=1
	v_mov_b32_e32 v3, s7
	s_or_b32 s20, s5, 4
	ds_load_u8 v3, v3 offset:4112
	s_wait_dscnt 0x0
	v_readfirstlane_b32 s6, v3
	s_cmp_gt_i32 s17, s6
	s_cselect_b32 s21, 4, 2
	s_cselect_b32 s5, s5, s20
	s_cselect_b32 s6, 1, s6
	s_lshl_b32 s18, s18, 2
	v_mov_b32_e32 v6, s21
	s_add_co_i32 s19, s19, s18
	s_add_co_i32 s18, s7, s6
	v_mov_b32_e32 v3, s19
	s_cmp_lt_u32 s18, 0x200
	ds_store_b32 v3, v6
	s_cbranch_scc0 .LBB0_42
	;; [unrolled: 18-line block ×6, first 2 shown]
; %bb.41:                               ;   in Loop: Header=BB0_34 Depth=1
	v_mov_b32_e32 v3, s19
	s_or_b32 s21, s5, 0x80
	s_mov_b32 s7, -1
	ds_load_u8 v3, v3 offset:4112
	s_wait_dscnt 0x0
	v_readfirstlane_b32 s20, v3
	s_cmp_gt_i32 s17, s20
	s_cselect_b32 s22, 4, 2
	s_cselect_b32 s5, s5, s21
	;; [unrolled: 1-line block ×3, first 2 shown]
	s_lshl_b32 s21, s6, 2
	v_mov_b32_e32 v6, s22
	s_add_co_i32 s18, s18, s21
	s_delay_alu instid0(SALU_CYCLE_1)
	v_dual_mov_b32 v3, s4 :: v_dual_mov_b32 v7, s18
	s_add_co_i32 s6, s19, s20
	v_mov_b32_e32 v8, s5
	s_add_co_i32 s4, s4, 1
	s_cmp_gt_u32 s6, 0x1ff
	s_mov_b32 s5, 0
	s_cselect_b32 s18, -1, 0
	ds_store_b32 v7, v6
	ds_store_b8 v3, v8 offset:5136
	s_and_b32 vcc_lo, exec_lo, s18
	s_cbranch_vccz .LBB0_34
	s_branch .LBB0_44
.LBB0_42:                               ;   in Loop: Header=BB0_34 Depth=1
	s_mov_b32 s18, -1
.LBB0_43:                               ;   in Loop: Header=BB0_34 Depth=1
	s_mov_b32 s7, 0
                                        ; implicit-def: $sgpr6
	s_and_b32 vcc_lo, exec_lo, s18
	s_cbranch_vccz .LBB0_34
.LBB0_44:
	s_and_b32 vcc_lo, exec_lo, s7
	s_cbranch_vccnz .LBB0_46
; %bb.45:
	v_dual_mov_b32 v3, s4 :: v_dual_mov_b32 v6, s5
	s_add_co_i32 s4, s4, 1
	ds_store_b8 v3, v6 offset:5136
.LBB0_46:
	v_mov_b32_e32 v6, s4
.LBB0_47:
	s_or_b32 exec_lo, exec_lo, s1
	s_wait_dscnt 0x0
	s_barrier_signal -1
	s_barrier_wait -1
	s_and_saveexec_b32 s1, s2
	s_cbranch_execz .LBB0_49
; %bb.48:
	v_lshl_add_u32 v3, v0, 2, v1
	ds_load_b64 v[8:9], v3
	s_wait_dscnt 0x0
	v_add_nc_u32_e32 v7, v9, v8
	ds_store_b32 v3, v7 offset:4
.LBB0_49:
	s_or_b32 exec_lo, exec_lo, s1
	v_lshlrev_b32_e32 v2, 3, v2
	s_wait_dscnt 0x0
	s_barrier_signal -1
	s_barrier_wait -1
	s_and_saveexec_b32 s1, s3
	s_cbranch_execz .LBB0_51
; %bb.50:
	ds_load_b64 v[8:9], v2
	s_wait_dscnt 0x0
	v_add_nc_u32_e32 v3, v9, v8
	ds_store_b32 v2, v3 offset:4
.LBB0_51:
	s_or_b32 exec_lo, exec_lo, s1
	v_lshlrev_b32_e32 v3, 4, v0
	s_wait_dscnt 0x0
	s_barrier_signal -1
	s_barrier_wait -1
	s_barrier_signal -1
	s_barrier_wait -1
	;; [unrolled: 2-line block ×3, first 2 shown]
	s_and_saveexec_b32 s1, s3
	s_cbranch_execz .LBB0_53
; %bb.52:
	ds_load_2addr_b32 v[8:9], v3 offset0:1 offset1:3
	s_wait_dscnt 0x0
	v_add_nc_u32_e32 v7, v9, v8
	ds_store_b32 v3, v7 offset:12
.LBB0_53:
	s_or_b32 exec_lo, exec_lo, s1
	v_cmp_gt_u32_e32 vcc_lo, 64, v0
	v_lshlrev_b32_e32 v7, 5, v0
	s_wait_dscnt 0x0
	s_barrier_signal -1
	s_barrier_wait -1
	s_barrier_signal -1
	s_barrier_wait -1
	;; [unrolled: 2-line block ×4, first 2 shown]
	s_and_saveexec_b32 s1, vcc_lo
	s_cbranch_execz .LBB0_55
; %bb.54:
	ds_load_2addr_b32 v[8:9], v7 offset0:3 offset1:7
	s_wait_dscnt 0x0
	v_add_nc_u32_e32 v8, v9, v8
	ds_store_b32 v7, v8 offset:28
.LBB0_55:
	s_or_b32 exec_lo, exec_lo, s1
	v_cmp_gt_u32_e64 s1, 32, v0
	v_lshlrev_b32_e32 v8, 6, v0
	s_wait_dscnt 0x0
	s_barrier_signal -1
	s_barrier_wait -1
	s_barrier_signal -1
	s_barrier_wait -1
	s_barrier_signal -1
	s_barrier_wait -1
	s_barrier_signal -1
	s_barrier_wait -1
	s_and_saveexec_b32 s4, s1
	s_cbranch_execz .LBB0_57
; %bb.56:
	ds_load_2addr_b32 v[10:11], v8 offset0:7 offset1:15
	s_wait_dscnt 0x0
	v_add_nc_u32_e32 v9, v11, v10
	ds_store_b32 v8, v9 offset:60
.LBB0_57:
	s_or_b32 exec_lo, exec_lo, s4
	v_cmp_gt_u32_e64 s4, 16, v0
	v_lshlrev_b32_e32 v9, 7, v0
	s_wait_dscnt 0x0
	s_barrier_signal -1
	s_barrier_wait -1
	s_barrier_signal -1
	s_barrier_wait -1
	s_barrier_signal -1
	s_barrier_wait -1
	s_barrier_signal -1
	s_barrier_wait -1
	s_and_saveexec_b32 s5, s4
	;; [unrolled: 20-line block ×5, first 2 shown]
	s_cbranch_execz .LBB0_65
; %bb.64:
	ds_load_2addr_b32 v[14:15], v12 offset0:127 offset1:255
	s_wait_dscnt 0x0
	v_add_nc_u32_e32 v13, v15, v14
	ds_store_b32 v12, v13 offset:1020
.LBB0_65:
	s_or_b32 exec_lo, exec_lo, s18
	s_wait_dscnt 0x0
	s_barrier_signal -1
	s_barrier_wait -1
	s_barrier_signal -1
	s_barrier_wait -1
	;; [unrolled: 2-line block ×4, first 2 shown]
	s_and_saveexec_b32 s18, s0
	s_cbranch_execz .LBB0_67
; %bb.66:
	v_add_nc_u32_e64 v13, 0xfc, 0
	ds_load_2addr_stride64_b32 v[14:15], v13 offset0:3 offset1:7
	s_wait_dscnt 0x0
	v_dual_mov_b32 v13, 0 :: v_dual_add_nc_u32 v14, v15, v14
	ds_store_b32 v13, v14 offset:2044
.LBB0_67:
	s_or_b32 exec_lo, exec_lo, s18
	s_wait_dscnt 0x0
	s_barrier_signal -1
	s_barrier_wait -1
	s_barrier_signal -1
	s_barrier_wait -1
	s_barrier_signal -1
	s_barrier_wait -1
	s_barrier_signal -1
	s_barrier_wait -1
	s_and_saveexec_b32 s18, s0
	s_cbranch_execz .LBB0_69
; %bb.68:
	v_dual_mov_b32 v13, 0 :: v_dual_mov_b32 v15, s16
	v_mov_b32_e32 v16, 0x7fc
	ds_load_b32 v14, v13 offset:2044
	s_wait_dscnt 0x0
	s_clause 0x1
	global_store_b32 v15, v14, s[10:11] scale_offset
	global_store_b32 v15, v6, s[8:9] scale_offset
	ds_store_2addr_b32 v16, v13, v14 offset1:1
.LBB0_69:
	s_wait_xcnt 0x0
	s_or_b32 exec_lo, exec_lo, s18
	s_wait_storecnt_dscnt 0x0
	s_barrier_signal -1
	s_barrier_wait -1
	s_and_saveexec_b32 s8, s0
	s_cbranch_execz .LBB0_71
; %bb.70:
	v_add_nc_u32_e64 v13, 0xfc, 0
	ds_load_2addr_stride64_b32 v[14:15], v13 offset0:3 offset1:7
	s_wait_dscnt 0x0
	v_add_nc_u32_e32 v14, v15, v14
	ds_store_2addr_stride64_b32 v13, v15, v14 offset0:3 offset1:7
.LBB0_71:
	s_or_b32 exec_lo, exec_lo, s8
	s_wait_dscnt 0x0
	s_barrier_signal -1
	s_barrier_wait -1
	s_barrier_signal -1
	s_barrier_wait -1
	s_barrier_signal -1
	s_barrier_wait -1
	s_barrier_signal -1
	s_barrier_wait -1
	s_and_saveexec_b32 s8, s7
	s_cbranch_execz .LBB0_73
; %bb.72:
	ds_load_2addr_b32 v[14:15], v12 offset0:127 offset1:255
	s_wait_dscnt 0x0
	v_add_nc_u32_e32 v13, v15, v14
	ds_store_2addr_b32 v12, v15, v13 offset0:127 offset1:255
.LBB0_73:
	s_or_b32 exec_lo, exec_lo, s8
	s_wait_dscnt 0x0
	s_barrier_signal -1
	s_barrier_wait -1
	s_barrier_signal -1
	s_barrier_wait -1
	s_barrier_signal -1
	s_barrier_wait -1
	s_barrier_signal -1
	s_barrier_wait -1
	s_and_saveexec_b32 s7, s6
	s_cbranch_execz .LBB0_75
; %bb.74:
	ds_load_2addr_b32 v[12:13], v11 offset0:63 offset1:127
	s_wait_dscnt 0x0
	v_add_nc_u32_e32 v12, v13, v12
	ds_store_2addr_b32 v11, v13, v12 offset0:63 offset1:127
.LBB0_75:
	;; [unrolled: 18-line block ×5, first 2 shown]
	s_or_b32 exec_lo, exec_lo, s4
	s_wait_dscnt 0x0
	s_barrier_signal -1
	s_barrier_wait -1
	s_barrier_signal -1
	s_barrier_wait -1
	;; [unrolled: 2-line block ×4, first 2 shown]
	s_and_saveexec_b32 s1, vcc_lo
	s_cbranch_execz .LBB0_83
; %bb.82:
	ds_load_2addr_b32 v[8:9], v7 offset0:3 offset1:7
	s_wait_dscnt 0x0
	v_add_nc_u32_e32 v8, v9, v8
	ds_store_2addr_b32 v7, v9, v8 offset0:3 offset1:7
.LBB0_83:
	s_or_b32 exec_lo, exec_lo, s1
	s_wait_dscnt 0x0
	s_barrier_signal -1
	s_barrier_wait -1
	s_barrier_signal -1
	s_barrier_wait -1
	;; [unrolled: 2-line block ×4, first 2 shown]
	s_and_saveexec_b32 s1, s3
	s_cbranch_execz .LBB0_85
; %bb.84:
	ds_load_2addr_b32 v[8:9], v3 offset0:1 offset1:3
	s_wait_dscnt 0x0
	v_add_nc_u32_e32 v7, v9, v8
	ds_store_2addr_b32 v3, v9, v7 offset0:1 offset1:3
.LBB0_85:
	s_or_b32 exec_lo, exec_lo, s1
	s_wait_dscnt 0x0
	s_barrier_signal -1
	s_barrier_wait -1
	s_barrier_signal -1
	s_barrier_wait -1
	;; [unrolled: 2-line block ×4, first 2 shown]
	s_and_saveexec_b32 s1, s2
	s_cbranch_execz .LBB0_87
; %bb.86:
	v_lshlrev_b32_e32 v3, 3, v0
	ds_load_b64 v[8:9], v3
	s_wait_dscnt 0x0
	v_dual_mov_b32 v10, v9 :: v_dual_add_nc_u32 v11, v9, v8
	ds_store_b64 v3, v[10:11]
.LBB0_87:
	s_or_b32 exec_lo, exec_lo, s1
	s_wait_dscnt 0x0
	s_barrier_signal -1
	s_barrier_wait -1
	s_and_saveexec_b32 s1, s3
	s_cbranch_execz .LBB0_89
; %bb.88:
	ds_load_b64 v[8:9], v2
	s_wait_dscnt 0x0
	v_dual_mov_b32 v10, v9 :: v_dual_add_nc_u32 v11, v9, v8
	ds_store_b64 v2, v[10:11]
.LBB0_89:
	s_or_b32 exec_lo, exec_lo, s1
	s_wait_dscnt 0x0
	s_barrier_signal -1
	s_barrier_wait -1
	s_barrier_signal -1
	s_barrier_wait -1
	;; [unrolled: 2-line block ×3, first 2 shown]
	ds_load_2addr_b32 v[2:3], v1 offset1:1
	s_lshl_b32 s1, s16, 11
	s_mov_b32 s2, exec_lo
	s_wait_dscnt 0x0
	v_cmpx_ne_u32_e64 v3, v2
	s_cbranch_execz .LBB0_95
; %bb.90:
	ds_load_u8 v7, v0 offset:4112
	v_add_nc_u32_e32 v2, s1, v2
	s_wait_dscnt 0x0
	v_and_b32_e32 v3, 0xff, v7
	s_wait_kmcnt 0x0
	s_delay_alu instid0(VALU_DEP_1) | instskip(SKIP_2) | instid1(SALU_CYCLE_1)
	v_cmp_le_i32_e32 vcc_lo, s17, v3
	v_add_nc_u32_e32 v3, 3, v4
	s_and_saveexec_b32 s3, vcc_lo
	s_xor_b32 s3, exec_lo, s3
	s_cbranch_execz .LBB0_92
; %bb.91:
	v_mov_b32_e32 v3, v5
	global_store_b8 v2, v7, s[14:15]
.LBB0_92:
	s_wait_xcnt 0x0
	s_or_saveexec_b32 s3, s3
	v_mov_b32_e32 v7, 1
	s_xor_b32 exec_lo, exec_lo, s3
	s_cbranch_execz .LBB0_94
; %bb.93:
	ds_load_b32 v8, v4
	v_dual_add_nc_u32 v11, 2, v2 :: v_dual_mov_b32 v7, 3
	s_wait_dscnt 0x0
	v_dual_add_nc_u32 v9, 1, v2 :: v_dual_lshrrev_b32 v10, 8, v8
	s_clause 0x2
	global_store_b8 v2, v8, s[14:15]
	global_store_b8 v9, v10, s[14:15]
	global_store_d16_hi_b8 v11, v8, s[14:15]
.LBB0_94:
	s_wait_xcnt 0x0
	s_or_b32 exec_lo, exec_lo, s3
	ds_load_u8 v3, v3
	v_add_nc_u32_e32 v2, v2, v7
	s_wait_dscnt 0x0
	global_store_b8 v2, v3, s[14:15]
.LBB0_95:
	s_wait_xcnt 0x0
	s_or_b32 exec_lo, exec_lo, s2
	ds_load_2addr_b32 v[2:3], v1 offset0:128 offset1:129
	s_mov_b32 s2, exec_lo
	s_wait_dscnt 0x0
	v_cmpx_ne_u32_e64 v3, v2
	s_cbranch_execz .LBB0_101
; %bb.96:
	ds_load_u8 v8, v0 offset:4240
	v_add_nc_u32_e32 v7, s1, v2
	v_add_nc_u32_e32 v2, 0x203, v4
	s_wait_dscnt 0x0
	v_and_b32_e32 v3, 0xff, v8
	s_wait_kmcnt 0x0
	s_delay_alu instid0(VALU_DEP_1) | instskip(SKIP_2) | instid1(SALU_CYCLE_1)
	v_cmp_le_i32_e32 vcc_lo, s17, v3
	v_add_nc_u32_e32 v3, 1, v7
	s_and_saveexec_b32 s3, vcc_lo
	s_xor_b32 s3, exec_lo, s3
	s_cbranch_execz .LBB0_98
; %bb.97:
	v_add_nc_u32_e32 v2, 0x80, v5
	global_store_b8 v7, v8, s[14:15]
                                        ; implicit-def: $vgpr7
.LBB0_98:
	s_wait_xcnt 0x0
	s_and_not1_saveexec_b32 s3, s3
	s_cbranch_execz .LBB0_100
; %bb.99:
	ds_load_b32 v8, v4 offset:512
	s_wait_dscnt 0x0
	v_dual_add_nc_u32 v10, 2, v7 :: v_dual_lshrrev_b32 v9, 8, v8
	global_store_b8 v3, v9, s[14:15]
	s_wait_xcnt 0x0
	v_add_nc_u32_e32 v3, 3, v7
	s_clause 0x1
	global_store_b8 v7, v8, s[14:15]
	global_store_d16_hi_b8 v10, v8, s[14:15]
.LBB0_100:
	s_wait_xcnt 0x0
	s_or_b32 exec_lo, exec_lo, s3
	ds_load_u8 v2, v2
	s_wait_dscnt 0x0
	global_store_b8 v3, v2, s[14:15]
.LBB0_101:
	s_wait_xcnt 0x0
	s_or_b32 exec_lo, exec_lo, s2
	v_add_nc_u32_e32 v2, 0x400, v1
	s_mov_b32 s2, exec_lo
	ds_load_2addr_b32 v[2:3], v2 offset1:1
	s_wait_dscnt 0x0
	v_cmpx_ne_u32_e64 v3, v2
	s_cbranch_execz .LBB0_107
; %bb.102:
	ds_load_u8 v8, v0 offset:4368
	v_add_nc_u32_e32 v7, s1, v2
	v_add_nc_u32_e32 v2, 0x403, v4
	s_wait_dscnt 0x0
	v_and_b32_e32 v3, 0xff, v8
	s_wait_kmcnt 0x0
	s_delay_alu instid0(VALU_DEP_1) | instskip(SKIP_2) | instid1(SALU_CYCLE_1)
	v_cmp_le_i32_e32 vcc_lo, s17, v3
	v_add_nc_u32_e32 v3, 1, v7
	s_and_saveexec_b32 s3, vcc_lo
	s_xor_b32 s3, exec_lo, s3
	s_cbranch_execz .LBB0_104
; %bb.103:
	v_add_nc_u32_e32 v2, 0x100, v5
	global_store_b8 v7, v8, s[14:15]
                                        ; implicit-def: $vgpr7
.LBB0_104:
	s_wait_xcnt 0x0
	s_and_not1_saveexec_b32 s3, s3
	s_cbranch_execz .LBB0_106
; %bb.105:
	ds_load_b32 v8, v4 offset:1024
	s_wait_dscnt 0x0
	v_dual_add_nc_u32 v10, 2, v7 :: v_dual_lshrrev_b32 v9, 8, v8
	global_store_b8 v3, v9, s[14:15]
	s_wait_xcnt 0x0
	v_add_nc_u32_e32 v3, 3, v7
	s_clause 0x1
	global_store_b8 v7, v8, s[14:15]
	global_store_d16_hi_b8 v10, v8, s[14:15]
.LBB0_106:
	s_wait_xcnt 0x0
	s_or_b32 exec_lo, exec_lo, s3
	ds_load_u8 v2, v2
	s_wait_dscnt 0x0
	global_store_b8 v3, v2, s[14:15]
.LBB0_107:
	s_wait_xcnt 0x0
	s_or_b32 exec_lo, exec_lo, s2
	v_add_nc_u32_e32 v1, 0x600, v1
	s_mov_b32 s2, exec_lo
	ds_load_2addr_b32 v[2:3], v1 offset1:1
	s_wait_dscnt 0x0
	v_cmpx_ne_u32_e64 v3, v2
	s_cbranch_execz .LBB0_113
; %bb.108:
	ds_load_u8 v3, v0 offset:4496
	v_add_nc_u32_e32 v2, s1, v2
	v_add_nc_u32_e32 v0, 0x603, v4
	s_wait_dscnt 0x0
	v_and_b32_e32 v1, 0xff, v3
	s_wait_kmcnt 0x0
	s_delay_alu instid0(VALU_DEP_1) | instskip(SKIP_2) | instid1(SALU_CYCLE_1)
	v_cmp_le_i32_e32 vcc_lo, s17, v1
	v_add_nc_u32_e32 v1, 1, v2
	s_and_saveexec_b32 s1, vcc_lo
	s_xor_b32 s1, exec_lo, s1
	s_cbranch_execz .LBB0_110
; %bb.109:
	v_add_nc_u32_e32 v0, 0x180, v5
	global_store_b8 v2, v3, s[14:15]
                                        ; implicit-def: $vgpr4
                                        ; implicit-def: $vgpr2
.LBB0_110:
	s_wait_xcnt 0x0
	s_and_not1_saveexec_b32 s1, s1
	s_cbranch_execz .LBB0_112
; %bb.111:
	ds_load_b32 v3, v4 offset:1536
	s_wait_dscnt 0x0
	v_dual_add_nc_u32 v5, 2, v2 :: v_dual_lshrrev_b32 v4, 8, v3
	global_store_b8 v1, v4, s[14:15]
	s_wait_xcnt 0x0
	v_add_nc_u32_e32 v1, 3, v2
	s_clause 0x1
	global_store_b8 v2, v3, s[14:15]
	global_store_d16_hi_b8 v5, v3, s[14:15]
.LBB0_112:
	s_wait_xcnt 0x0
	s_or_b32 exec_lo, exec_lo, s1
	ds_load_u8 v0, v0
	s_wait_dscnt 0x0
	global_store_b8 v1, v0, s[14:15]
.LBB0_113:
	s_wait_xcnt 0x0
	s_or_b32 exec_lo, exec_lo, s2
	v_cmp_ne_u32_e32 vcc_lo, 0, v6
	s_and_b32 s0, s0, vcc_lo
	s_delay_alu instid0(SALU_CYCLE_1)
	s_and_saveexec_b32 s1, s0
	s_cbranch_execz .LBB0_126
; %bb.114:
	v_dual_sub_nc_u32 v0, 0, v6 :: v_dual_mov_b32 v2, 0
	s_lshl_b32 s1, s16, 6
	v_cmp_lt_u32_e32 vcc_lo, 7, v6
	s_mov_b32 s2, -1
	s_delay_alu instid0(VALU_DEP_2) | instskip(SKIP_1) | instid1(SALU_CYCLE_1)
	v_cmp_le_u32_e64 s0, s1, v0
	s_and_b32 s3, vcc_lo, s0
	s_and_saveexec_b32 s0, s3
	s_cbranch_execz .LBB0_123
; %bb.115:
	v_dual_add_nc_u32 v0, -8, v6 :: v_dual_mov_b32 v2, 0
	s_delay_alu instid0(VALU_DEP_1) | instskip(SKIP_1) | instid1(VALU_DEP_2)
	v_lshrrev_b32_e32 v1, 3, v0
	v_cmp_lt_u32_e32 vcc_lo, 55, v0
	v_add_nc_u32_e32 v0, 1, v1
	s_and_saveexec_b32 s2, vcc_lo
	s_cbranch_execz .LBB0_119
; %bb.116:
	s_delay_alu instid0(VALU_DEP_1)
	v_and_b32_e32 v1, 0x3ffffff8, v0
	s_mov_b32 s3, 0
	s_mov_b32 s4, 0
.LBB0_117:                              ; =>This Inner Loop Header: Depth=1
	s_delay_alu instid0(VALU_DEP_1) | instid1(SALU_CYCLE_1)
	v_dual_mov_b32 v2, s4 :: v_dual_add_nc_u32 v1, -8, v1
	s_add_co_i32 s5, s1, s4
	s_add_co_i32 s4, s4, 64
	;; [unrolled: 1-line block ×3, first 2 shown]
	ds_load_b128 v[8:11], v2 offset:5136
	ds_load_b128 v[12:15], v2 offset:5152
	;; [unrolled: 1-line block ×4, first 2 shown]
	v_cmp_eq_u32_e32 vcc_lo, 0, v1
	v_dual_mov_b32 v3, s5 :: v_dual_mov_b32 v2, s4
	s_add_co_i32 s7, s5, 32
	s_add_co_i32 s5, s5, 48
	v_dual_mov_b32 v4, s6 :: v_dual_mov_b32 v5, s7
	v_mov_b32_e32 v7, s5
	s_or_b32 s3, vcc_lo, s3
	s_wait_dscnt 0x3
	global_store_b128 v3, v[8:11], s[12:13]
	s_wait_dscnt 0x2
	global_store_b128 v4, v[12:15], s[12:13]
	;; [unrolled: 2-line block ×4, first 2 shown]
	s_wait_xcnt 0x0
	s_and_not1_b32 exec_lo, exec_lo, s3
	s_cbranch_execnz .LBB0_117
; %bb.118:
	s_or_b32 exec_lo, exec_lo, s3
.LBB0_119:
	s_delay_alu instid0(SALU_CYCLE_1) | instskip(NEXT) | instid1(VALU_DEP_1)
	s_or_b32 exec_lo, exec_lo, s2
	v_and_b32_e32 v0, 7, v0
	s_mov_b32 s3, 0
	s_mov_b32 s2, exec_lo
	s_delay_alu instid0(VALU_DEP_1)
	v_cmpx_ne_u32_e32 0, v0
	s_cbranch_execz .LBB0_122
; %bb.120:
	v_add_nc_u32_e32 v1, s1, v2
	v_add_nc_u32_e32 v2, 0x1410, v2
.LBB0_121:                              ; =>This Inner Loop Header: Depth=1
	ds_load_b64 v[4:5], v2
	v_dual_add_nc_u32 v0, -1, v0 :: v_dual_add_nc_u32 v2, 8, v2
	s_delay_alu instid0(VALU_DEP_1)
	v_cmp_eq_u32_e32 vcc_lo, 0, v0
	s_or_b32 s3, vcc_lo, s3
	s_wait_dscnt 0x0
	global_store_b64 v1, v[4:5], s[12:13]
	s_wait_xcnt 0x0
	v_add_nc_u32_e32 v1, 8, v1
	s_and_not1_b32 exec_lo, exec_lo, s3
	s_cbranch_execnz .LBB0_121
.LBB0_122:
	s_or_b32 exec_lo, exec_lo, s2
	v_and_b32_e32 v2, -8, v6
	s_delay_alu instid0(VALU_DEP_1)
	v_cmp_ne_u32_e32 vcc_lo, v6, v2
	s_or_not1_b32 s2, vcc_lo, exec_lo
.LBB0_123:
	s_or_b32 exec_lo, exec_lo, s0
	s_delay_alu instid0(SALU_CYCLE_1)
	s_and_b32 exec_lo, exec_lo, s2
	s_cbranch_execz .LBB0_126
; %bb.124:
	v_dual_sub_nc_u32 v0, v6, v2 :: v_dual_add_nc_u32 v1, s1, v2
	v_add_nc_u32_e32 v2, 0x1410, v2
	s_mov_b32 s0, 0
.LBB0_125:                              ; =>This Inner Loop Header: Depth=1
	ds_load_u8 v3, v2
	v_dual_add_nc_u32 v0, -1, v0 :: v_dual_add_nc_u32 v2, 1, v2
	s_delay_alu instid0(VALU_DEP_1)
	v_cmp_eq_u32_e32 vcc_lo, 0, v0
	s_or_b32 s0, vcc_lo, s0
	s_wait_dscnt 0x0
	global_store_b8 v1, v3, s[12:13]
	s_wait_xcnt 0x0
	v_add_nc_u32_e32 v1, 1, v1
	s_and_not1_b32 exec_lo, exec_lo, s0
	s_cbranch_execnz .LBB0_125
.LBB0_126:
	s_endpgm
	.section	.rodata,"a",@progbits
	.p2align	6, 0x0
	.amdhsa_kernel _Z15compressKernelIIjEvPKT_jPjS3_PhS4_i
		.amdhsa_group_segment_fixed_size 5200
		.amdhsa_private_segment_fixed_size 0
		.amdhsa_kernarg_size 52
		.amdhsa_user_sgpr_count 2
		.amdhsa_user_sgpr_dispatch_ptr 0
		.amdhsa_user_sgpr_queue_ptr 0
		.amdhsa_user_sgpr_kernarg_segment_ptr 1
		.amdhsa_user_sgpr_dispatch_id 0
		.amdhsa_user_sgpr_kernarg_preload_length 0
		.amdhsa_user_sgpr_kernarg_preload_offset 0
		.amdhsa_user_sgpr_private_segment_size 0
		.amdhsa_wavefront_size32 1
		.amdhsa_uses_dynamic_stack 0
		.amdhsa_enable_private_segment 0
		.amdhsa_system_sgpr_workgroup_id_x 1
		.amdhsa_system_sgpr_workgroup_id_y 0
		.amdhsa_system_sgpr_workgroup_id_z 0
		.amdhsa_system_sgpr_workgroup_info 0
		.amdhsa_system_vgpr_workitem_id 0
		.amdhsa_next_free_vgpr 24
		.amdhsa_next_free_sgpr 23
		.amdhsa_named_barrier_count 0
		.amdhsa_reserve_vcc 1
		.amdhsa_float_round_mode_32 0
		.amdhsa_float_round_mode_16_64 0
		.amdhsa_float_denorm_mode_32 3
		.amdhsa_float_denorm_mode_16_64 3
		.amdhsa_fp16_overflow 0
		.amdhsa_memory_ordered 1
		.amdhsa_forward_progress 1
		.amdhsa_inst_pref_size 45
		.amdhsa_round_robin_scheduling 0
		.amdhsa_exception_fp_ieee_invalid_op 0
		.amdhsa_exception_fp_denorm_src 0
		.amdhsa_exception_fp_ieee_div_zero 0
		.amdhsa_exception_fp_ieee_overflow 0
		.amdhsa_exception_fp_ieee_underflow 0
		.amdhsa_exception_fp_ieee_inexact 0
		.amdhsa_exception_int_div_zero 0
	.end_amdhsa_kernel
	.section	.text._Z15compressKernelIIjEvPKT_jPjS3_PhS4_i,"axG",@progbits,_Z15compressKernelIIjEvPKT_jPjS3_PhS4_i,comdat
.Lfunc_end0:
	.size	_Z15compressKernelIIjEvPKT_jPjS3_PhS4_i, .Lfunc_end0-_Z15compressKernelIIjEvPKT_jPjS3_PhS4_i
                                        ; -- End function
	.set _Z15compressKernelIIjEvPKT_jPjS3_PhS4_i.num_vgpr, 24
	.set _Z15compressKernelIIjEvPKT_jPjS3_PhS4_i.num_agpr, 0
	.set _Z15compressKernelIIjEvPKT_jPjS3_PhS4_i.numbered_sgpr, 23
	.set _Z15compressKernelIIjEvPKT_jPjS3_PhS4_i.num_named_barrier, 0
	.set _Z15compressKernelIIjEvPKT_jPjS3_PhS4_i.private_seg_size, 0
	.set _Z15compressKernelIIjEvPKT_jPjS3_PhS4_i.uses_vcc, 1
	.set _Z15compressKernelIIjEvPKT_jPjS3_PhS4_i.uses_flat_scratch, 0
	.set _Z15compressKernelIIjEvPKT_jPjS3_PhS4_i.has_dyn_sized_stack, 0
	.set _Z15compressKernelIIjEvPKT_jPjS3_PhS4_i.has_recursion, 0
	.set _Z15compressKernelIIjEvPKT_jPjS3_PhS4_i.has_indirect_call, 0
	.section	.AMDGPU.csdata,"",@progbits
; Kernel info:
; codeLenInByte = 5756
; TotalNumSgprs: 25
; NumVgprs: 24
; ScratchSize: 0
; MemoryBound: 0
; FloatMode: 240
; IeeeMode: 1
; LDSByteSize: 5200 bytes/workgroup (compile time only)
; SGPRBlocks: 0
; VGPRBlocks: 1
; NumSGPRsForWavesPerEU: 25
; NumVGPRsForWavesPerEU: 24
; NamedBarCnt: 0
; Occupancy: 16
; WaveLimiterHint : 0
; COMPUTE_PGM_RSRC2:SCRATCH_EN: 0
; COMPUTE_PGM_RSRC2:USER_SGPR: 2
; COMPUTE_PGM_RSRC2:TRAP_HANDLER: 0
; COMPUTE_PGM_RSRC2:TGID_X_EN: 1
; COMPUTE_PGM_RSRC2:TGID_Y_EN: 0
; COMPUTE_PGM_RSRC2:TGID_Z_EN: 0
; COMPUTE_PGM_RSRC2:TIDIG_COMP_CNT: 0
	.section	.text._ZN7rocprim17ROCPRIM_400000_NS6detail31init_lookback_scan_state_kernelINS1_19lookback_scan_stateIjLb0ELb1EEENS1_16block_id_wrapperIjLb0EEEEEvT_jT0_jPNS7_10value_typeE,"axG",@progbits,_ZN7rocprim17ROCPRIM_400000_NS6detail31init_lookback_scan_state_kernelINS1_19lookback_scan_stateIjLb0ELb1EEENS1_16block_id_wrapperIjLb0EEEEEvT_jT0_jPNS7_10value_typeE,comdat
	.protected	_ZN7rocprim17ROCPRIM_400000_NS6detail31init_lookback_scan_state_kernelINS1_19lookback_scan_stateIjLb0ELb1EEENS1_16block_id_wrapperIjLb0EEEEEvT_jT0_jPNS7_10value_typeE ; -- Begin function _ZN7rocprim17ROCPRIM_400000_NS6detail31init_lookback_scan_state_kernelINS1_19lookback_scan_stateIjLb0ELb1EEENS1_16block_id_wrapperIjLb0EEEEEvT_jT0_jPNS7_10value_typeE
	.globl	_ZN7rocprim17ROCPRIM_400000_NS6detail31init_lookback_scan_state_kernelINS1_19lookback_scan_stateIjLb0ELb1EEENS1_16block_id_wrapperIjLb0EEEEEvT_jT0_jPNS7_10value_typeE
	.p2align	8
	.type	_ZN7rocprim17ROCPRIM_400000_NS6detail31init_lookback_scan_state_kernelINS1_19lookback_scan_stateIjLb0ELb1EEENS1_16block_id_wrapperIjLb0EEEEEvT_jT0_jPNS7_10value_typeE,@function
_ZN7rocprim17ROCPRIM_400000_NS6detail31init_lookback_scan_state_kernelINS1_19lookback_scan_stateIjLb0ELb1EEENS1_16block_id_wrapperIjLb0EEEEEvT_jT0_jPNS7_10value_typeE: ; @_ZN7rocprim17ROCPRIM_400000_NS6detail31init_lookback_scan_state_kernelINS1_19lookback_scan_stateIjLb0ELb1EEENS1_16block_id_wrapperIjLb0EEEEEvT_jT0_jPNS7_10value_typeE
; %bb.0:
	s_clause 0x2
	s_load_b32 s7, s[0:1], 0x2c
	s_load_b96 s[4:6], s[0:1], 0x0
	s_load_b64 s[2:3], s[0:1], 0x18
	s_bfe_u32 s8, ttmp6, 0x4000c
	s_and_b32 s9, ttmp6, 15
	s_add_co_i32 s8, s8, 1
	s_getreg_b32 s10, hwreg(HW_REG_IB_STS2, 6, 4)
	s_mul_i32 s8, ttmp9, s8
	s_delay_alu instid0(SALU_CYCLE_1)
	s_add_co_i32 s9, s9, s8
	s_wait_kmcnt 0x0
	s_and_b32 s7, s7, 0xffff
	s_cmp_eq_u32 s10, 0
	s_cselect_b32 s8, ttmp9, s9
	s_cmp_eq_u64 s[2:3], 0
	v_mad_u32 v4, s8, s7, v0
	s_cbranch_scc1 .LBB1_7
; %bb.1:
	s_load_b32 s0, s[0:1], 0x10
	s_mov_b32 s7, exec_lo
	s_wait_kmcnt 0x0
	s_cmp_lt_u32 s0, s6
	s_cselect_b32 s1, s0, 0
	s_delay_alu instid0(VALU_DEP_1) | instid1(SALU_CYCLE_1)
	v_cmpx_eq_u32_e64 s1, v4
	s_cbranch_execz .LBB1_6
; %bb.2:
	s_add_co_i32 s0, s0, 32
	s_delay_alu instid0(SALU_CYCLE_1) | instskip(SKIP_3) | instid1(VALU_DEP_1)
	v_dual_mov_b32 v2, 0 :: v_dual_mov_b32 v0, s0
	global_load_b64 v[0:1], v0, s[4:5] scale_offset scope:SCOPE_DEV
	s_wait_loadcnt 0x0
	v_and_b32_e32 v3, 0xff, v1
	v_cmp_ne_u64_e32 vcc_lo, 0, v[2:3]
	s_cbranch_vccnz .LBB1_5
; %bb.3:
	s_mov_b32 s1, 0
	s_delay_alu instid0(SALU_CYCLE_1) | instskip(NEXT) | instid1(SALU_CYCLE_1)
	s_lshl_b64 s[0:1], s[0:1], 3
	s_add_nc_u64 s[0:1], s[4:5], s[0:1]
.LBB1_4:                                ; =>This Inner Loop Header: Depth=1
	global_load_b64 v[0:1], v2, s[0:1] scope:SCOPE_DEV
	s_wait_loadcnt 0x0
	v_and_b32_e32 v3, 0xff, v1
	s_delay_alu instid0(VALU_DEP_1)
	v_cmp_eq_u64_e32 vcc_lo, 0, v[2:3]
	s_cbranch_vccnz .LBB1_4
.LBB1_5:
	v_mov_b32_e32 v1, 0
	global_store_b32 v1, v0, s[2:3]
.LBB1_6:
	s_wait_xcnt 0x0
	s_or_b32 exec_lo, exec_lo, s7
.LBB1_7:
	s_delay_alu instid0(SALU_CYCLE_1) | instskip(NEXT) | instid1(VALU_DEP_1)
	s_mov_b32 s0, exec_lo
	v_cmpx_gt_u32_e64 s6, v4
	s_cbranch_execz .LBB1_9
; %bb.8:
	v_mov_b64_e32 v[0:1], 0
	v_add_nc_u32_e32 v2, 32, v4
	global_store_b64 v2, v[0:1], s[4:5] scale_offset
.LBB1_9:
	s_wait_xcnt 0x0
	s_or_b32 exec_lo, exec_lo, s0
	s_delay_alu instid0(SALU_CYCLE_1)
	s_mov_b32 s0, exec_lo
	v_cmpx_gt_u32_e32 32, v4
	s_cbranch_execz .LBB1_11
; %bb.10:
	v_mov_b64_e32 v[0:1], 0xff00000000
	global_store_b64 v4, v[0:1], s[4:5] scale_offset
.LBB1_11:
	s_endpgm
	.section	.rodata,"a",@progbits
	.p2align	6, 0x0
	.amdhsa_kernel _ZN7rocprim17ROCPRIM_400000_NS6detail31init_lookback_scan_state_kernelINS1_19lookback_scan_stateIjLb0ELb1EEENS1_16block_id_wrapperIjLb0EEEEEvT_jT0_jPNS7_10value_typeE
		.amdhsa_group_segment_fixed_size 0
		.amdhsa_private_segment_fixed_size 0
		.amdhsa_kernarg_size 288
		.amdhsa_user_sgpr_count 2
		.amdhsa_user_sgpr_dispatch_ptr 0
		.amdhsa_user_sgpr_queue_ptr 0
		.amdhsa_user_sgpr_kernarg_segment_ptr 1
		.amdhsa_user_sgpr_dispatch_id 0
		.amdhsa_user_sgpr_kernarg_preload_length 0
		.amdhsa_user_sgpr_kernarg_preload_offset 0
		.amdhsa_user_sgpr_private_segment_size 0
		.amdhsa_wavefront_size32 1
		.amdhsa_uses_dynamic_stack 0
		.amdhsa_enable_private_segment 0
		.amdhsa_system_sgpr_workgroup_id_x 1
		.amdhsa_system_sgpr_workgroup_id_y 0
		.amdhsa_system_sgpr_workgroup_id_z 0
		.amdhsa_system_sgpr_workgroup_info 0
		.amdhsa_system_vgpr_workitem_id 0
		.amdhsa_next_free_vgpr 5
		.amdhsa_next_free_sgpr 11
		.amdhsa_named_barrier_count 0
		.amdhsa_reserve_vcc 1
		.amdhsa_float_round_mode_32 0
		.amdhsa_float_round_mode_16_64 0
		.amdhsa_float_denorm_mode_32 3
		.amdhsa_float_denorm_mode_16_64 3
		.amdhsa_fp16_overflow 0
		.amdhsa_memory_ordered 1
		.amdhsa_forward_progress 1
		.amdhsa_inst_pref_size 3
		.amdhsa_round_robin_scheduling 0
		.amdhsa_exception_fp_ieee_invalid_op 0
		.amdhsa_exception_fp_denorm_src 0
		.amdhsa_exception_fp_ieee_div_zero 0
		.amdhsa_exception_fp_ieee_overflow 0
		.amdhsa_exception_fp_ieee_underflow 0
		.amdhsa_exception_fp_ieee_inexact 0
		.amdhsa_exception_int_div_zero 0
	.end_amdhsa_kernel
	.section	.text._ZN7rocprim17ROCPRIM_400000_NS6detail31init_lookback_scan_state_kernelINS1_19lookback_scan_stateIjLb0ELb1EEENS1_16block_id_wrapperIjLb0EEEEEvT_jT0_jPNS7_10value_typeE,"axG",@progbits,_ZN7rocprim17ROCPRIM_400000_NS6detail31init_lookback_scan_state_kernelINS1_19lookback_scan_stateIjLb0ELb1EEENS1_16block_id_wrapperIjLb0EEEEEvT_jT0_jPNS7_10value_typeE,comdat
.Lfunc_end1:
	.size	_ZN7rocprim17ROCPRIM_400000_NS6detail31init_lookback_scan_state_kernelINS1_19lookback_scan_stateIjLb0ELb1EEENS1_16block_id_wrapperIjLb0EEEEEvT_jT0_jPNS7_10value_typeE, .Lfunc_end1-_ZN7rocprim17ROCPRIM_400000_NS6detail31init_lookback_scan_state_kernelINS1_19lookback_scan_stateIjLb0ELb1EEENS1_16block_id_wrapperIjLb0EEEEEvT_jT0_jPNS7_10value_typeE
                                        ; -- End function
	.set _ZN7rocprim17ROCPRIM_400000_NS6detail31init_lookback_scan_state_kernelINS1_19lookback_scan_stateIjLb0ELb1EEENS1_16block_id_wrapperIjLb0EEEEEvT_jT0_jPNS7_10value_typeE.num_vgpr, 5
	.set _ZN7rocprim17ROCPRIM_400000_NS6detail31init_lookback_scan_state_kernelINS1_19lookback_scan_stateIjLb0ELb1EEENS1_16block_id_wrapperIjLb0EEEEEvT_jT0_jPNS7_10value_typeE.num_agpr, 0
	.set _ZN7rocprim17ROCPRIM_400000_NS6detail31init_lookback_scan_state_kernelINS1_19lookback_scan_stateIjLb0ELb1EEENS1_16block_id_wrapperIjLb0EEEEEvT_jT0_jPNS7_10value_typeE.numbered_sgpr, 11
	.set _ZN7rocprim17ROCPRIM_400000_NS6detail31init_lookback_scan_state_kernelINS1_19lookback_scan_stateIjLb0ELb1EEENS1_16block_id_wrapperIjLb0EEEEEvT_jT0_jPNS7_10value_typeE.num_named_barrier, 0
	.set _ZN7rocprim17ROCPRIM_400000_NS6detail31init_lookback_scan_state_kernelINS1_19lookback_scan_stateIjLb0ELb1EEENS1_16block_id_wrapperIjLb0EEEEEvT_jT0_jPNS7_10value_typeE.private_seg_size, 0
	.set _ZN7rocprim17ROCPRIM_400000_NS6detail31init_lookback_scan_state_kernelINS1_19lookback_scan_stateIjLb0ELb1EEENS1_16block_id_wrapperIjLb0EEEEEvT_jT0_jPNS7_10value_typeE.uses_vcc, 1
	.set _ZN7rocprim17ROCPRIM_400000_NS6detail31init_lookback_scan_state_kernelINS1_19lookback_scan_stateIjLb0ELb1EEENS1_16block_id_wrapperIjLb0EEEEEvT_jT0_jPNS7_10value_typeE.uses_flat_scratch, 0
	.set _ZN7rocprim17ROCPRIM_400000_NS6detail31init_lookback_scan_state_kernelINS1_19lookback_scan_stateIjLb0ELb1EEENS1_16block_id_wrapperIjLb0EEEEEvT_jT0_jPNS7_10value_typeE.has_dyn_sized_stack, 0
	.set _ZN7rocprim17ROCPRIM_400000_NS6detail31init_lookback_scan_state_kernelINS1_19lookback_scan_stateIjLb0ELb1EEENS1_16block_id_wrapperIjLb0EEEEEvT_jT0_jPNS7_10value_typeE.has_recursion, 0
	.set _ZN7rocprim17ROCPRIM_400000_NS6detail31init_lookback_scan_state_kernelINS1_19lookback_scan_stateIjLb0ELb1EEENS1_16block_id_wrapperIjLb0EEEEEvT_jT0_jPNS7_10value_typeE.has_indirect_call, 0
	.section	.AMDGPU.csdata,"",@progbits
; Kernel info:
; codeLenInByte = 356
; TotalNumSgprs: 13
; NumVgprs: 5
; ScratchSize: 0
; MemoryBound: 0
; FloatMode: 240
; IeeeMode: 1
; LDSByteSize: 0 bytes/workgroup (compile time only)
; SGPRBlocks: 0
; VGPRBlocks: 0
; NumSGPRsForWavesPerEU: 13
; NumVGPRsForWavesPerEU: 5
; NamedBarCnt: 0
; Occupancy: 16
; WaveLimiterHint : 0
; COMPUTE_PGM_RSRC2:SCRATCH_EN: 0
; COMPUTE_PGM_RSRC2:USER_SGPR: 2
; COMPUTE_PGM_RSRC2:TRAP_HANDLER: 0
; COMPUTE_PGM_RSRC2:TGID_X_EN: 1
; COMPUTE_PGM_RSRC2:TGID_Y_EN: 0
; COMPUTE_PGM_RSRC2:TGID_Z_EN: 0
; COMPUTE_PGM_RSRC2:TIDIG_COMP_CNT: 0
	.section	.text._ZN7rocprim17ROCPRIM_400000_NS6detail17trampoline_kernelINS0_14default_configENS1_20scan_config_selectorIjEEZZNS1_9scan_implILNS1_25lookback_scan_determinismE0ELb1ELb1ES3_PjS8_jN6hipcub16HIPCUB_304000_NS3SumEjEEDaPvRmT3_T4_T5_mT6_P12ihipStream_tbENKUlT_T0_E_clISt17integral_constantIbLb0EESP_EEDaSK_SL_EUlSK_E_NS1_11comp_targetILNS1_3genE0ELNS1_11target_archE4294967295ELNS1_3gpuE0ELNS1_3repE0EEENS1_30default_config_static_selectorELNS0_4arch9wavefront6targetE0EEEvT1_,"axG",@progbits,_ZN7rocprim17ROCPRIM_400000_NS6detail17trampoline_kernelINS0_14default_configENS1_20scan_config_selectorIjEEZZNS1_9scan_implILNS1_25lookback_scan_determinismE0ELb1ELb1ES3_PjS8_jN6hipcub16HIPCUB_304000_NS3SumEjEEDaPvRmT3_T4_T5_mT6_P12ihipStream_tbENKUlT_T0_E_clISt17integral_constantIbLb0EESP_EEDaSK_SL_EUlSK_E_NS1_11comp_targetILNS1_3genE0ELNS1_11target_archE4294967295ELNS1_3gpuE0ELNS1_3repE0EEENS1_30default_config_static_selectorELNS0_4arch9wavefront6targetE0EEEvT1_,comdat
	.protected	_ZN7rocprim17ROCPRIM_400000_NS6detail17trampoline_kernelINS0_14default_configENS1_20scan_config_selectorIjEEZZNS1_9scan_implILNS1_25lookback_scan_determinismE0ELb1ELb1ES3_PjS8_jN6hipcub16HIPCUB_304000_NS3SumEjEEDaPvRmT3_T4_T5_mT6_P12ihipStream_tbENKUlT_T0_E_clISt17integral_constantIbLb0EESP_EEDaSK_SL_EUlSK_E_NS1_11comp_targetILNS1_3genE0ELNS1_11target_archE4294967295ELNS1_3gpuE0ELNS1_3repE0EEENS1_30default_config_static_selectorELNS0_4arch9wavefront6targetE0EEEvT1_ ; -- Begin function _ZN7rocprim17ROCPRIM_400000_NS6detail17trampoline_kernelINS0_14default_configENS1_20scan_config_selectorIjEEZZNS1_9scan_implILNS1_25lookback_scan_determinismE0ELb1ELb1ES3_PjS8_jN6hipcub16HIPCUB_304000_NS3SumEjEEDaPvRmT3_T4_T5_mT6_P12ihipStream_tbENKUlT_T0_E_clISt17integral_constantIbLb0EESP_EEDaSK_SL_EUlSK_E_NS1_11comp_targetILNS1_3genE0ELNS1_11target_archE4294967295ELNS1_3gpuE0ELNS1_3repE0EEENS1_30default_config_static_selectorELNS0_4arch9wavefront6targetE0EEEvT1_
	.globl	_ZN7rocprim17ROCPRIM_400000_NS6detail17trampoline_kernelINS0_14default_configENS1_20scan_config_selectorIjEEZZNS1_9scan_implILNS1_25lookback_scan_determinismE0ELb1ELb1ES3_PjS8_jN6hipcub16HIPCUB_304000_NS3SumEjEEDaPvRmT3_T4_T5_mT6_P12ihipStream_tbENKUlT_T0_E_clISt17integral_constantIbLb0EESP_EEDaSK_SL_EUlSK_E_NS1_11comp_targetILNS1_3genE0ELNS1_11target_archE4294967295ELNS1_3gpuE0ELNS1_3repE0EEENS1_30default_config_static_selectorELNS0_4arch9wavefront6targetE0EEEvT1_
	.p2align	8
	.type	_ZN7rocprim17ROCPRIM_400000_NS6detail17trampoline_kernelINS0_14default_configENS1_20scan_config_selectorIjEEZZNS1_9scan_implILNS1_25lookback_scan_determinismE0ELb1ELb1ES3_PjS8_jN6hipcub16HIPCUB_304000_NS3SumEjEEDaPvRmT3_T4_T5_mT6_P12ihipStream_tbENKUlT_T0_E_clISt17integral_constantIbLb0EESP_EEDaSK_SL_EUlSK_E_NS1_11comp_targetILNS1_3genE0ELNS1_11target_archE4294967295ELNS1_3gpuE0ELNS1_3repE0EEENS1_30default_config_static_selectorELNS0_4arch9wavefront6targetE0EEEvT1_,@function
_ZN7rocprim17ROCPRIM_400000_NS6detail17trampoline_kernelINS0_14default_configENS1_20scan_config_selectorIjEEZZNS1_9scan_implILNS1_25lookback_scan_determinismE0ELb1ELb1ES3_PjS8_jN6hipcub16HIPCUB_304000_NS3SumEjEEDaPvRmT3_T4_T5_mT6_P12ihipStream_tbENKUlT_T0_E_clISt17integral_constantIbLb0EESP_EEDaSK_SL_EUlSK_E_NS1_11comp_targetILNS1_3genE0ELNS1_11target_archE4294967295ELNS1_3gpuE0ELNS1_3repE0EEENS1_30default_config_static_selectorELNS0_4arch9wavefront6targetE0EEEvT1_: ; @_ZN7rocprim17ROCPRIM_400000_NS6detail17trampoline_kernelINS0_14default_configENS1_20scan_config_selectorIjEEZZNS1_9scan_implILNS1_25lookback_scan_determinismE0ELb1ELb1ES3_PjS8_jN6hipcub16HIPCUB_304000_NS3SumEjEEDaPvRmT3_T4_T5_mT6_P12ihipStream_tbENKUlT_T0_E_clISt17integral_constantIbLb0EESP_EEDaSK_SL_EUlSK_E_NS1_11comp_targetILNS1_3genE0ELNS1_11target_archE4294967295ELNS1_3gpuE0ELNS1_3repE0EEENS1_30default_config_static_selectorELNS0_4arch9wavefront6targetE0EEEvT1_
; %bb.0:
	s_clause 0x1
	s_load_b256 s[16:23], s[0:1], 0x0
	s_load_b32 s2, s[0:1], 0x30
	s_bfe_u32 s4, ttmp6, 0x4000c
	s_and_b32 s5, ttmp6, 15
	s_add_co_i32 s7, s4, 1
	s_getreg_b32 s6, hwreg(HW_REG_IB_STS2, 6, 4)
	s_mul_i32 s8, ttmp9, s7
	s_mov_b32 s3, 0
	s_add_co_i32 s5, s5, s8
	s_mov_b32 s7, s3
	v_lshlrev_b32_e32 v30, 2, v0
	s_mov_b32 s4, -1
	s_wait_kmcnt 0x0
	s_lshl_b64 s[24:25], s[18:19], 2
	s_cmp_eq_u32 s6, 0
	s_add_nc_u64 s[30:31], s[16:17], s[24:25]
	s_cselect_b32 s36, ttmp9, s5
	s_add_co_i32 s2, s2, -1
	s_mul_i32 s6, s36, 0xe00
	s_cmp_lg_u32 s36, s2
	s_mulk_i32 s2, 0xe00
	s_cselect_b32 s33, -1, 0
	s_lshl_b64 s[26:27], s[6:7], 2
	s_and_b32 vcc_lo, exec_lo, s33
	s_add_nc_u64 s[34:35], s[30:31], s[26:27]
	s_cbranch_vccz .LBB2_2
; %bb.1:
	s_clause 0xd
	global_load_b32 v1, v0, s[34:35] scale_offset
	global_load_b32 v2, v0, s[34:35] offset:1024 scale_offset
	global_load_b32 v3, v0, s[34:35] offset:2048 scale_offset
	;; [unrolled: 1-line block ×13, first 2 shown]
	s_mov_b32 s4, s3
	s_wait_loadcnt 0xc
	ds_store_2addr_stride64_b32 v30, v1, v2 offset1:4
	s_wait_loadcnt 0xa
	ds_store_2addr_stride64_b32 v30, v3, v4 offset0:8 offset1:12
	s_wait_loadcnt 0x8
	ds_store_2addr_stride64_b32 v30, v5, v6 offset0:16 offset1:20
	;; [unrolled: 2-line block ×6, first 2 shown]
	s_wait_dscnt 0x0
	s_barrier_signal -1
	s_barrier_wait -1
.LBB2_2:
	s_load_b64 s[28:29], s[0:1], 0x28
	s_sub_nc_u64 s[18:19], s[22:23], s[2:3]
	s_and_not1_b32 vcc_lo, exec_lo, s4
	v_cmp_gt_u32_e64 s2, s18, v0
	s_cbranch_vccnz .LBB2_32
; %bb.3:
	s_load_b32 s4, s[34:35], 0x0
	s_wait_kmcnt 0x0
	s_mov_b32 s5, s4
	s_mov_b32 s6, s4
	;; [unrolled: 1-line block ×13, first 2 shown]
	v_mov_b64_e32 v[2:3], s[4:5]
	v_mov_b64_e32 v[4:5], s[6:7]
	;; [unrolled: 1-line block ×7, first 2 shown]
	v_mov_b32_e32 v1, s4
	v_mov_b64_e32 v[16:17], s[18:19]
	s_and_saveexec_b32 s3, s2
	s_cbranch_execz .LBB2_5
; %bb.4:
	global_load_b32 v1, v0, s[34:35] scale_offset
	v_dual_mov_b32 v3, s4 :: v_dual_mov_b32 v4, s4
	v_dual_mov_b32 v5, s4 :: v_dual_mov_b32 v6, s4
	;; [unrolled: 1-line block ×6, first 2 shown]
	v_mov_b32_e32 v15, s4
.LBB2_5:
	s_wait_xcnt 0x0
	s_or_b32 exec_lo, exec_lo, s3
	v_or_b32_e32 v2, 0x100, v0
	s_mov_b32 s2, exec_lo
	s_delay_alu instid0(VALU_DEP_1)
	v_cmpx_gt_u32_e64 s18, v2
	s_cbranch_execz .LBB2_7
; %bb.6:
	global_load_b32 v3, v0, s[34:35] offset:1024 scale_offset
.LBB2_7:
	s_wait_xcnt 0x0
	s_or_b32 exec_lo, exec_lo, s2
	v_or_b32_e32 v2, 0x200, v0
	s_mov_b32 s2, exec_lo
	s_delay_alu instid0(VALU_DEP_1)
	v_cmpx_gt_u32_e64 s18, v2
	s_cbranch_execz .LBB2_9
; %bb.8:
	global_load_b32 v4, v0, s[34:35] offset:2048 scale_offset
.LBB2_9:
	s_wait_xcnt 0x0
	s_or_b32 exec_lo, exec_lo, s2
	v_or_b32_e32 v2, 0x300, v0
	s_mov_b32 s2, exec_lo
	s_delay_alu instid0(VALU_DEP_1)
	v_cmpx_gt_u32_e64 s18, v2
	s_cbranch_execz .LBB2_11
; %bb.10:
	global_load_b32 v5, v0, s[34:35] offset:3072 scale_offset
.LBB2_11:
	s_wait_xcnt 0x0
	s_or_b32 exec_lo, exec_lo, s2
	v_or_b32_e32 v2, 0x400, v0
	s_mov_b32 s2, exec_lo
	s_delay_alu instid0(VALU_DEP_1)
	v_cmpx_gt_u32_e64 s18, v2
	s_cbranch_execz .LBB2_13
; %bb.12:
	global_load_b32 v6, v0, s[34:35] offset:4096 scale_offset
.LBB2_13:
	s_wait_xcnt 0x0
	s_or_b32 exec_lo, exec_lo, s2
	v_or_b32_e32 v2, 0x500, v0
	s_mov_b32 s2, exec_lo
	s_delay_alu instid0(VALU_DEP_1)
	v_cmpx_gt_u32_e64 s18, v2
	s_cbranch_execz .LBB2_15
; %bb.14:
	global_load_b32 v7, v0, s[34:35] offset:5120 scale_offset
.LBB2_15:
	s_wait_xcnt 0x0
	s_or_b32 exec_lo, exec_lo, s2
	v_or_b32_e32 v2, 0x600, v0
	s_mov_b32 s2, exec_lo
	s_delay_alu instid0(VALU_DEP_1)
	v_cmpx_gt_u32_e64 s18, v2
	s_cbranch_execz .LBB2_17
; %bb.16:
	global_load_b32 v8, v0, s[34:35] offset:6144 scale_offset
.LBB2_17:
	s_wait_xcnt 0x0
	s_or_b32 exec_lo, exec_lo, s2
	v_or_b32_e32 v2, 0x700, v0
	s_mov_b32 s2, exec_lo
	s_delay_alu instid0(VALU_DEP_1)
	v_cmpx_gt_u32_e64 s18, v2
	s_cbranch_execz .LBB2_19
; %bb.18:
	global_load_b32 v9, v0, s[34:35] offset:7168 scale_offset
.LBB2_19:
	s_wait_xcnt 0x0
	s_or_b32 exec_lo, exec_lo, s2
	v_or_b32_e32 v2, 0x800, v0
	s_mov_b32 s2, exec_lo
	s_delay_alu instid0(VALU_DEP_1)
	v_cmpx_gt_u32_e64 s18, v2
	s_cbranch_execz .LBB2_21
; %bb.20:
	global_load_b32 v10, v0, s[34:35] offset:8192 scale_offset
.LBB2_21:
	s_wait_xcnt 0x0
	s_or_b32 exec_lo, exec_lo, s2
	v_or_b32_e32 v2, 0x900, v0
	s_mov_b32 s2, exec_lo
	s_delay_alu instid0(VALU_DEP_1)
	v_cmpx_gt_u32_e64 s18, v2
	s_cbranch_execz .LBB2_23
; %bb.22:
	global_load_b32 v11, v0, s[34:35] offset:9216 scale_offset
.LBB2_23:
	s_wait_xcnt 0x0
	s_or_b32 exec_lo, exec_lo, s2
	v_or_b32_e32 v2, 0xa00, v0
	s_mov_b32 s2, exec_lo
	s_delay_alu instid0(VALU_DEP_1)
	v_cmpx_gt_u32_e64 s18, v2
	s_cbranch_execz .LBB2_25
; %bb.24:
	global_load_b32 v12, v0, s[34:35] offset:10240 scale_offset
.LBB2_25:
	s_wait_xcnt 0x0
	s_or_b32 exec_lo, exec_lo, s2
	v_or_b32_e32 v2, 0xb00, v0
	s_mov_b32 s2, exec_lo
	s_delay_alu instid0(VALU_DEP_1)
	v_cmpx_gt_u32_e64 s18, v2
	s_cbranch_execz .LBB2_27
; %bb.26:
	global_load_b32 v13, v0, s[34:35] offset:11264 scale_offset
.LBB2_27:
	s_wait_xcnt 0x0
	s_or_b32 exec_lo, exec_lo, s2
	v_or_b32_e32 v2, 0xc00, v0
	s_mov_b32 s2, exec_lo
	s_delay_alu instid0(VALU_DEP_1)
	v_cmpx_gt_u32_e64 s18, v2
	s_cbranch_execz .LBB2_29
; %bb.28:
	global_load_b32 v14, v0, s[34:35] offset:12288 scale_offset
.LBB2_29:
	s_wait_xcnt 0x0
	s_or_b32 exec_lo, exec_lo, s2
	v_or_b32_e32 v2, 0xd00, v0
	s_mov_b32 s2, exec_lo
	s_delay_alu instid0(VALU_DEP_1)
	v_cmpx_gt_u32_e64 s18, v2
	s_cbranch_execz .LBB2_31
; %bb.30:
	global_load_b32 v15, v0, s[34:35] offset:13312 scale_offset
.LBB2_31:
	s_wait_xcnt 0x0
	s_or_b32 exec_lo, exec_lo, s2
	s_wait_loadcnt 0x0
	ds_store_2addr_stride64_b32 v30, v1, v3 offset1:4
	ds_store_2addr_stride64_b32 v30, v4, v5 offset0:8 offset1:12
	ds_store_2addr_stride64_b32 v30, v6, v7 offset0:16 offset1:20
	;; [unrolled: 1-line block ×6, first 2 shown]
	s_wait_dscnt 0x0
	s_barrier_signal -1
	s_barrier_wait -1
.LBB2_32:
	v_mul_u32_u24_e32 v1, 56, v0
	v_mbcnt_lo_u32_b32 v31, -1, 0
	v_or_b32_e32 v35, 31, v0
	s_cmp_lg_u32 s36, 0
	ds_load_2addr_b64 v[26:29], v1 offset1:1
	ds_load_2addr_b64 v[22:25], v1 offset0:2 offset1:3
	ds_load_2addr_b64 v[18:21], v1 offset0:4 offset1:5
	ds_load_b64 v[32:33], v1 offset:48
	s_wait_dscnt 0x0
	s_barrier_signal -1
	s_barrier_wait -1
	v_dual_lshrrev_b32 v34, 5, v0 :: v_dual_add_nc_u32 v2, v27, v26
	s_delay_alu instid0(VALU_DEP_1)
	v_add3_u32 v36, v2, v28, v29
	s_cbranch_scc0 .LBB2_54
; %bb.33:
	s_delay_alu instid0(VALU_DEP_1) | instskip(SKIP_1) | instid1(VALU_DEP_1)
	v_add3_u32 v2, v36, v22, v23
	s_mov_b32 s2, exec_lo
	v_add3_u32 v2, v2, v24, v25
	s_delay_alu instid0(VALU_DEP_1) | instskip(NEXT) | instid1(VALU_DEP_1)
	v_add3_u32 v2, v2, v18, v19
	v_add3_u32 v2, v2, v20, v21
	s_delay_alu instid0(VALU_DEP_1) | instskip(NEXT) | instid1(VALU_DEP_1)
	v_add3_u32 v2, v2, v32, v33
	v_mov_b32_dpp v4, v2 row_shr:1 row_mask:0xf bank_mask:0xf
	v_and_b32_e32 v3, 15, v31
	s_delay_alu instid0(VALU_DEP_1) | instskip(NEXT) | instid1(VALU_DEP_3)
	v_cmp_ne_u32_e32 vcc_lo, 0, v3
	v_cndmask_b32_e32 v4, 0, v4, vcc_lo
	v_cmp_lt_u32_e32 vcc_lo, 1, v3
	s_delay_alu instid0(VALU_DEP_2) | instskip(NEXT) | instid1(VALU_DEP_1)
	v_add_nc_u32_e32 v2, v4, v2
	v_mov_b32_dpp v4, v2 row_shr:2 row_mask:0xf bank_mask:0xf
	s_delay_alu instid0(VALU_DEP_1) | instskip(SKIP_1) | instid1(VALU_DEP_2)
	v_cndmask_b32_e32 v4, 0, v4, vcc_lo
	v_cmp_lt_u32_e32 vcc_lo, 3, v3
	v_add_nc_u32_e32 v2, v2, v4
	s_delay_alu instid0(VALU_DEP_1) | instskip(NEXT) | instid1(VALU_DEP_1)
	v_mov_b32_dpp v4, v2 row_shr:4 row_mask:0xf bank_mask:0xf
	v_cndmask_b32_e32 v4, 0, v4, vcc_lo
	v_cmp_lt_u32_e32 vcc_lo, 7, v3
	s_delay_alu instid0(VALU_DEP_2) | instskip(NEXT) | instid1(VALU_DEP_1)
	v_add_nc_u32_e32 v2, v2, v4
	v_mov_b32_dpp v4, v2 row_shr:8 row_mask:0xf bank_mask:0xf
	s_delay_alu instid0(VALU_DEP_1) | instskip(SKIP_1) | instid1(VALU_DEP_2)
	v_cndmask_b32_e32 v3, 0, v4, vcc_lo
	v_bfe_i32 v4, v31, 4, 1
	v_add_nc_u32_e32 v2, v2, v3
	ds_swizzle_b32 v3, v2 offset:swizzle(BROADCAST,32,15)
	s_wait_dscnt 0x0
	v_and_b32_e32 v3, v4, v3
	s_delay_alu instid0(VALU_DEP_1)
	v_add_nc_u32_e32 v2, v2, v3
	v_cmpx_eq_u32_e64 v0, v35
; %bb.34:
	v_lshlrev_b32_e32 v3, 2, v34
	ds_store_b32 v3, v2
; %bb.35:
	s_or_b32 exec_lo, exec_lo, s2
	s_delay_alu instid0(SALU_CYCLE_1)
	s_mov_b32 s2, exec_lo
	s_wait_dscnt 0x0
	s_barrier_signal -1
	s_barrier_wait -1
	v_cmpx_gt_u32_e32 8, v0
	s_cbranch_execz .LBB2_37
; %bb.36:
	ds_load_b32 v3, v30
	s_wait_dscnt 0x0
	v_mov_b32_dpp v5, v3 row_shr:1 row_mask:0xf bank_mask:0xf
	v_and_b32_e32 v4, 7, v31
	s_delay_alu instid0(VALU_DEP_1) | instskip(NEXT) | instid1(VALU_DEP_3)
	v_cmp_ne_u32_e32 vcc_lo, 0, v4
	v_cndmask_b32_e32 v5, 0, v5, vcc_lo
	v_cmp_lt_u32_e32 vcc_lo, 1, v4
	s_delay_alu instid0(VALU_DEP_2) | instskip(NEXT) | instid1(VALU_DEP_1)
	v_add_nc_u32_e32 v3, v5, v3
	v_mov_b32_dpp v5, v3 row_shr:2 row_mask:0xf bank_mask:0xf
	s_delay_alu instid0(VALU_DEP_1) | instskip(SKIP_1) | instid1(VALU_DEP_2)
	v_cndmask_b32_e32 v5, 0, v5, vcc_lo
	v_cmp_lt_u32_e32 vcc_lo, 3, v4
	v_add_nc_u32_e32 v3, v3, v5
	s_delay_alu instid0(VALU_DEP_1) | instskip(NEXT) | instid1(VALU_DEP_1)
	v_mov_b32_dpp v5, v3 row_shr:4 row_mask:0xf bank_mask:0xf
	v_cndmask_b32_e32 v4, 0, v5, vcc_lo
	s_delay_alu instid0(VALU_DEP_1)
	v_add_nc_u32_e32 v3, v3, v4
	ds_store_b32 v30, v3
.LBB2_37:
	s_or_b32 exec_lo, exec_lo, s2
	s_delay_alu instid0(SALU_CYCLE_1)
	s_mov_b32 s3, exec_lo
	v_cmp_gt_u32_e32 vcc_lo, 32, v0
	s_wait_dscnt 0x0
	s_barrier_signal -1
	s_barrier_wait -1
                                        ; implicit-def: $vgpr10
	v_cmpx_lt_u32_e32 31, v0
	s_cbranch_execz .LBB2_39
; %bb.38:
	v_lshl_add_u32 v3, v34, 2, -4
	ds_load_b32 v10, v3
	s_wait_dscnt 0x0
	v_add_nc_u32_e32 v2, v10, v2
.LBB2_39:
	s_or_b32 exec_lo, exec_lo, s3
	v_sub_co_u32 v3, s2, v31, 1
	s_delay_alu instid0(VALU_DEP_1) | instskip(NEXT) | instid1(VALU_DEP_1)
	v_cmp_gt_i32_e64 s3, 0, v3
	v_cndmask_b32_e64 v3, v3, v31, s3
	s_delay_alu instid0(VALU_DEP_1)
	v_lshlrev_b32_e32 v3, 2, v3
	ds_bpermute_b32 v11, v3, v2
	s_and_saveexec_b32 s3, vcc_lo
	s_cbranch_execz .LBB2_59
; %bb.40:
	v_mov_b32_e32 v9, 0
	ds_load_b32 v2, v9 offset:28
	s_and_saveexec_b32 s4, s2
	s_cbranch_execz .LBB2_42
; %bb.41:
	s_add_co_i32 s5, s36, 32
	s_delay_alu instid0(SALU_CYCLE_1)
	v_dual_mov_b32 v3, 1 :: v_dual_mov_b32 v4, s5
	s_wait_xcnt 0x0
	s_wait_dscnt 0x0
	s_wait_kmcnt 0x0
	global_store_b64 v4, v[2:3], s[28:29] scale_offset scope:SCOPE_DEV
.LBB2_42:
	s_wait_xcnt 0x0
	s_or_b32 exec_lo, exec_lo, s4
	v_xad_u32 v4, v31, -1, s36
	s_mov_b32 s5, 0
	s_mov_b32 s4, exec_lo
	s_delay_alu instid0(VALU_DEP_1)
	v_add_nc_u32_e32 v8, 32, v4
	s_wait_kmcnt 0x0
	global_load_b64 v[6:7], v8, s[28:29] scale_offset scope:SCOPE_DEV
	s_wait_loadcnt 0x0
	v_and_b32_e32 v3, 0xff, v7
	s_wait_xcnt 0x0
	s_delay_alu instid0(VALU_DEP_1)
	v_cmpx_eq_u16_e32 0, v3
	s_cbranch_execz .LBB2_46
; %bb.43:
	v_lshl_add_u64 v[8:9], v[8:9], 3, s[28:29]
.LBB2_44:                               ; =>This Inner Loop Header: Depth=1
	global_load_b64 v[6:7], v[8:9], off scope:SCOPE_DEV
	s_wait_loadcnt 0x0
	v_and_b32_e32 v3, 0xff, v7
	s_delay_alu instid0(VALU_DEP_1)
	v_cmp_ne_u16_e32 vcc_lo, 0, v3
	s_or_b32 s5, vcc_lo, s5
	s_wait_xcnt 0x0
	s_and_not1_b32 exec_lo, exec_lo, s5
	s_cbranch_execnz .LBB2_44
; %bb.45:
	s_or_b32 exec_lo, exec_lo, s5
.LBB2_46:
	s_delay_alu instid0(SALU_CYCLE_1)
	s_or_b32 exec_lo, exec_lo, s4
	v_cmp_ne_u32_e32 vcc_lo, 31, v31
	v_and_b32_e32 v5, 0xff, v7
	v_lshlrev_b32_e64 v12, v31, -1
	v_lshl_or_b32 v39, v31, 2, 64
	v_add_nc_u32_e32 v14, 2, v31
	v_add_co_ci_u32_e64 v3, null, 0, v31, vcc_lo
	v_cmp_eq_u16_e32 vcc_lo, 2, v5
	v_dual_add_nc_u32 v16, 4, v31 :: v_dual_add_nc_u32 v38, 8, v31
	v_add_nc_u32_e32 v40, 16, v31
	v_and_or_b32 v5, vcc_lo, v12, 0x80000000
	v_cmp_gt_u32_e32 vcc_lo, 30, v31
	s_delay_alu instid0(VALU_DEP_2) | instskip(SKIP_1) | instid1(VALU_DEP_2)
	v_ctz_i32_b32_e32 v5, v5
	v_cndmask_b32_e64 v9, 0, 2, vcc_lo
	v_cmp_lt_u32_e32 vcc_lo, v31, v5
	v_lshlrev_b32_e32 v3, 2, v3
	s_delay_alu instid0(VALU_DEP_3) | instskip(SKIP_4) | instid1(VALU_DEP_2)
	v_add_lshl_u32 v13, v9, v31, 2
	ds_bpermute_b32 v8, v3, v6
	s_wait_dscnt 0x0
	v_cndmask_b32_e32 v8, 0, v8, vcc_lo
	v_cmp_gt_u32_e32 vcc_lo, 28, v31
	v_add_nc_u32_e32 v6, v8, v6
	v_cndmask_b32_e64 v9, 0, 4, vcc_lo
	v_cmp_le_u32_e32 vcc_lo, v14, v5
	ds_bpermute_b32 v8, v13, v6
	v_add_lshl_u32 v15, v9, v31, 2
	s_wait_dscnt 0x0
	v_cndmask_b32_e32 v8, 0, v8, vcc_lo
	v_cmp_gt_u32_e32 vcc_lo, 24, v31
	v_cndmask_b32_e64 v9, 0, 8, vcc_lo
	v_cmp_le_u32_e32 vcc_lo, v16, v5
	s_delay_alu instid0(VALU_DEP_4) | instskip(NEXT) | instid1(VALU_DEP_3)
	v_add_nc_u32_e32 v6, v6, v8
	v_add_lshl_u32 v17, v9, v31, 2
	ds_bpermute_b32 v8, v15, v6
	s_wait_dscnt 0x0
	v_cndmask_b32_e32 v8, 0, v8, vcc_lo
	v_cmp_le_u32_e32 vcc_lo, v38, v5
	s_delay_alu instid0(VALU_DEP_2) | instskip(SKIP_4) | instid1(VALU_DEP_2)
	v_add_nc_u32_e32 v6, v6, v8
	ds_bpermute_b32 v8, v17, v6
	s_wait_dscnt 0x0
	v_cndmask_b32_e32 v8, 0, v8, vcc_lo
	v_cmp_le_u32_e32 vcc_lo, v40, v5
	v_add_nc_u32_e32 v6, v6, v8
	ds_bpermute_b32 v8, v39, v6
	s_wait_dscnt 0x0
	v_cndmask_b32_e32 v5, 0, v8, vcc_lo
	s_delay_alu instid0(VALU_DEP_1)
	v_dual_mov_b32 v5, 0 :: v_dual_add_nc_u32 v6, v6, v5
	s_branch .LBB2_50
.LBB2_47:                               ;   in Loop: Header=BB2_50 Depth=1
	s_or_b32 exec_lo, exec_lo, s5
.LBB2_48:                               ;   in Loop: Header=BB2_50 Depth=1
	s_delay_alu instid0(SALU_CYCLE_1)
	s_or_b32 exec_lo, exec_lo, s4
	v_and_b32_e32 v8, 0xff, v7
	ds_bpermute_b32 v9, v3, v6
	v_subrev_nc_u32_e32 v4, 32, v4
	s_mov_b32 s4, 0
	v_cmp_eq_u16_e32 vcc_lo, 2, v8
	v_and_or_b32 v8, vcc_lo, v12, 0x80000000
	s_delay_alu instid0(VALU_DEP_1) | instskip(NEXT) | instid1(VALU_DEP_1)
	v_ctz_i32_b32_e32 v8, v8
	v_cmp_lt_u32_e32 vcc_lo, v31, v8
	s_wait_dscnt 0x0
	v_cndmask_b32_e32 v9, 0, v9, vcc_lo
	v_cmp_le_u32_e32 vcc_lo, v14, v8
	s_delay_alu instid0(VALU_DEP_2) | instskip(SKIP_4) | instid1(VALU_DEP_2)
	v_add_nc_u32_e32 v6, v9, v6
	ds_bpermute_b32 v9, v13, v6
	s_wait_dscnt 0x0
	v_cndmask_b32_e32 v9, 0, v9, vcc_lo
	v_cmp_le_u32_e32 vcc_lo, v16, v8
	v_add_nc_u32_e32 v6, v6, v9
	ds_bpermute_b32 v9, v15, v6
	s_wait_dscnt 0x0
	v_cndmask_b32_e32 v9, 0, v9, vcc_lo
	v_cmp_le_u32_e32 vcc_lo, v38, v8
	s_delay_alu instid0(VALU_DEP_2) | instskip(SKIP_4) | instid1(VALU_DEP_2)
	v_add_nc_u32_e32 v6, v6, v9
	ds_bpermute_b32 v9, v17, v6
	s_wait_dscnt 0x0
	v_cndmask_b32_e32 v9, 0, v9, vcc_lo
	v_cmp_le_u32_e32 vcc_lo, v40, v8
	v_add_nc_u32_e32 v6, v6, v9
	ds_bpermute_b32 v9, v39, v6
	s_wait_dscnt 0x0
	v_cndmask_b32_e32 v8, 0, v9, vcc_lo
	s_delay_alu instid0(VALU_DEP_1)
	v_add3_u32 v6, v8, v37, v6
.LBB2_49:                               ;   in Loop: Header=BB2_50 Depth=1
	s_and_b32 vcc_lo, exec_lo, s4
	s_cbranch_vccnz .LBB2_55
.LBB2_50:                               ; =>This Loop Header: Depth=1
                                        ;     Child Loop BB2_53 Depth 2
	v_and_b32_e32 v7, 0xff, v7
	s_delay_alu instid0(VALU_DEP_2) | instskip(SKIP_1) | instid1(VALU_DEP_2)
	v_mov_b32_e32 v37, v6
	s_mov_b32 s4, -1
                                        ; implicit-def: $vgpr6
	v_cmp_ne_u16_e32 vcc_lo, 2, v7
                                        ; implicit-def: $vgpr7
	s_cmp_lg_u32 vcc_lo, exec_lo
	s_cbranch_scc1 .LBB2_49
; %bb.51:                               ;   in Loop: Header=BB2_50 Depth=1
	global_load_b64 v[6:7], v4, s[28:29] scale_offset scope:SCOPE_DEV
	s_mov_b32 s4, exec_lo
	s_wait_loadcnt 0x0
	v_and_b32_e32 v8, 0xff, v7
	s_wait_xcnt 0x0
	s_delay_alu instid0(VALU_DEP_1)
	v_cmpx_eq_u16_e32 0, v8
	s_cbranch_execz .LBB2_48
; %bb.52:                               ;   in Loop: Header=BB2_50 Depth=1
	v_lshl_add_u64 v[8:9], v[4:5], 3, s[28:29]
	s_mov_b32 s5, 0
.LBB2_53:                               ;   Parent Loop BB2_50 Depth=1
                                        ; =>  This Inner Loop Header: Depth=2
	global_load_b64 v[6:7], v[8:9], off scope:SCOPE_DEV
	s_wait_loadcnt 0x0
	v_and_b32_e32 v41, 0xff, v7
	s_delay_alu instid0(VALU_DEP_1)
	v_cmp_ne_u16_e32 vcc_lo, 0, v41
	s_or_b32 s5, vcc_lo, s5
	s_wait_xcnt 0x0
	s_and_not1_b32 exec_lo, exec_lo, s5
	s_cbranch_execnz .LBB2_53
	s_branch .LBB2_47
.LBB2_54:
                                        ; implicit-def: $vgpr2_vgpr3_vgpr4_vgpr5_vgpr6_vgpr7_vgpr8_vgpr9_vgpr10_vgpr11_vgpr12_vgpr13_vgpr14_vgpr15_vgpr16_vgpr17
	s_load_b256 s[4:11], s[0:1], 0x38
	s_cbranch_execnz .LBB2_60
	s_branch .LBB2_71
.LBB2_55:
	s_and_saveexec_b32 s4, s2
	s_cbranch_execz .LBB2_57
; %bb.56:
	s_add_co_i32 s5, s36, 32
	v_dual_mov_b32 v3, 2 :: v_dual_add_nc_u32 v2, v37, v2
	v_mov_b32_e32 v4, s5
	global_store_b64 v4, v[2:3], s[28:29] scale_offset scope:SCOPE_DEV
.LBB2_57:
	s_wait_xcnt 0x0
	s_or_b32 exec_lo, exec_lo, s4
	v_cmp_eq_u32_e32 vcc_lo, 0, v0
	s_and_b32 exec_lo, exec_lo, vcc_lo
; %bb.58:
	v_mov_b32_e32 v2, 0
	ds_store_b32 v2, v37 offset:28
.LBB2_59:
	s_or_b32 exec_lo, exec_lo, s3
	s_wait_dscnt 0x0
	v_dual_mov_b32 v2, 0 :: v_dual_cndmask_b32 v3, v11, v10, s2
	s_wait_storecnt 0x0
	s_barrier_signal -1
	s_barrier_wait -1
	ds_load_b32 v2, v2 offset:28
	v_cmp_ne_u32_e32 vcc_lo, 0, v0
	v_cndmask_b32_e32 v3, 0, v3, vcc_lo
	s_wait_dscnt 0x0
	s_delay_alu instid0(VALU_DEP_1) | instskip(NEXT) | instid1(VALU_DEP_1)
	v_add_nc_u32_e32 v2, v2, v3
	v_add_nc_u32_e32 v3, v2, v26
	s_delay_alu instid0(VALU_DEP_1) | instskip(NEXT) | instid1(VALU_DEP_1)
	v_add_nc_u32_e32 v4, v3, v27
	v_add_nc_u32_e32 v5, v4, v28
	;; [unrolled: 3-line block ×7, first 2 shown]
	s_load_b256 s[4:11], s[0:1], 0x38
	s_branch .LBB2_71
.LBB2_60:
	s_wait_xcnt 0x0
	s_load_b32 s0, s[0:1], 0x20
	s_wait_kmcnt 0x0
	s_cmp_eq_u64 s[8:9], 0
	v_mov_b32_e32 v16, s0
	s_cbranch_scc1 .LBB2_62
; %bb.61:
	v_mov_b32_e32 v2, 0
	s_clause 0x1
	global_load_b32 v3, v2, s[30:31] offset:-4
	global_load_b32 v4, v2, s[4:5]
	s_wait_loadcnt 0x0
	v_add_nc_u32_e32 v16, v4, v3
.LBB2_62:
	v_add3_u32 v2, v36, v22, v23
	s_mov_b32 s0, exec_lo
	s_delay_alu instid0(VALU_DEP_1) | instskip(NEXT) | instid1(VALU_DEP_1)
	v_add3_u32 v2, v2, v24, v25
	v_add3_u32 v2, v2, v18, v19
	s_delay_alu instid0(VALU_DEP_1) | instskip(NEXT) | instid1(VALU_DEP_1)
	v_add3_u32 v2, v2, v20, v21
	v_add3_u32 v2, v2, v32, v33
	s_delay_alu instid0(VALU_DEP_1) | instskip(SKIP_1) | instid1(VALU_DEP_1)
	v_mov_b32_dpp v4, v2 row_shr:1 row_mask:0xf bank_mask:0xf
	v_and_b32_e32 v3, 15, v31
	v_cmp_ne_u32_e32 vcc_lo, 0, v3
	s_delay_alu instid0(VALU_DEP_3) | instskip(SKIP_1) | instid1(VALU_DEP_2)
	v_cndmask_b32_e32 v4, 0, v4, vcc_lo
	v_cmp_lt_u32_e32 vcc_lo, 1, v3
	v_add_nc_u32_e32 v2, v4, v2
	s_delay_alu instid0(VALU_DEP_1) | instskip(NEXT) | instid1(VALU_DEP_1)
	v_mov_b32_dpp v4, v2 row_shr:2 row_mask:0xf bank_mask:0xf
	v_cndmask_b32_e32 v4, 0, v4, vcc_lo
	v_cmp_lt_u32_e32 vcc_lo, 3, v3
	s_delay_alu instid0(VALU_DEP_2) | instskip(NEXT) | instid1(VALU_DEP_1)
	v_add_nc_u32_e32 v2, v2, v4
	v_mov_b32_dpp v4, v2 row_shr:4 row_mask:0xf bank_mask:0xf
	s_delay_alu instid0(VALU_DEP_1) | instskip(SKIP_1) | instid1(VALU_DEP_2)
	v_cndmask_b32_e32 v4, 0, v4, vcc_lo
	v_cmp_lt_u32_e32 vcc_lo, 7, v3
	v_add_nc_u32_e32 v2, v2, v4
	s_delay_alu instid0(VALU_DEP_1) | instskip(NEXT) | instid1(VALU_DEP_1)
	v_mov_b32_dpp v4, v2 row_shr:8 row_mask:0xf bank_mask:0xf
	v_cndmask_b32_e32 v3, 0, v4, vcc_lo
	v_bfe_i32 v4, v31, 4, 1
	s_delay_alu instid0(VALU_DEP_2) | instskip(SKIP_3) | instid1(VALU_DEP_1)
	v_add_nc_u32_e32 v2, v2, v3
	ds_swizzle_b32 v3, v2 offset:swizzle(BROADCAST,32,15)
	s_wait_dscnt 0x0
	v_and_b32_e32 v3, v4, v3
	v_add_nc_u32_e32 v2, v2, v3
	v_cmpx_eq_u32_e64 v0, v35
; %bb.63:
	v_lshlrev_b32_e32 v3, 2, v34
	ds_store_b32 v3, v2
; %bb.64:
	s_or_b32 exec_lo, exec_lo, s0
	s_delay_alu instid0(SALU_CYCLE_1)
	s_mov_b32 s0, exec_lo
	s_wait_dscnt 0x0
	s_barrier_signal -1
	s_barrier_wait -1
	v_cmpx_gt_u32_e32 8, v0
	s_cbranch_execz .LBB2_66
; %bb.65:
	v_mad_i32_i24 v3, 0xffffffcc, v0, v1
	ds_load_b32 v4, v3
	s_wait_dscnt 0x0
	v_mov_b32_dpp v6, v4 row_shr:1 row_mask:0xf bank_mask:0xf
	v_and_b32_e32 v5, 7, v31
	s_delay_alu instid0(VALU_DEP_1) | instskip(NEXT) | instid1(VALU_DEP_3)
	v_cmp_ne_u32_e32 vcc_lo, 0, v5
	v_cndmask_b32_e32 v6, 0, v6, vcc_lo
	v_cmp_lt_u32_e32 vcc_lo, 1, v5
	s_delay_alu instid0(VALU_DEP_2) | instskip(NEXT) | instid1(VALU_DEP_1)
	v_add_nc_u32_e32 v4, v6, v4
	v_mov_b32_dpp v6, v4 row_shr:2 row_mask:0xf bank_mask:0xf
	s_delay_alu instid0(VALU_DEP_1) | instskip(SKIP_1) | instid1(VALU_DEP_2)
	v_cndmask_b32_e32 v6, 0, v6, vcc_lo
	v_cmp_lt_u32_e32 vcc_lo, 3, v5
	v_add_nc_u32_e32 v4, v4, v6
	s_delay_alu instid0(VALU_DEP_1) | instskip(NEXT) | instid1(VALU_DEP_1)
	v_mov_b32_dpp v6, v4 row_shr:4 row_mask:0xf bank_mask:0xf
	v_cndmask_b32_e32 v5, 0, v6, vcc_lo
	s_delay_alu instid0(VALU_DEP_1)
	v_add_nc_u32_e32 v4, v4, v5
	ds_store_b32 v3, v4
.LBB2_66:
	s_or_b32 exec_lo, exec_lo, s0
	v_mov_b32_e32 v3, v16
	s_mov_b32 s0, exec_lo
	s_wait_dscnt 0x0
	s_barrier_signal -1
	s_barrier_wait -1
	v_cmpx_lt_u32_e32 31, v0
	s_cbranch_execz .LBB2_68
; %bb.67:
	v_lshl_add_u32 v3, v34, 2, -4
	ds_load_b32 v3, v3
	s_wait_dscnt 0x0
	v_add_nc_u32_e32 v3, v3, v16
.LBB2_68:
	s_or_b32 exec_lo, exec_lo, s0
	v_sub_co_u32 v4, vcc_lo, v31, 1
	s_delay_alu instid0(VALU_DEP_2) | instskip(NEXT) | instid1(VALU_DEP_2)
	v_add_nc_u32_e32 v2, v3, v2
	v_cmp_gt_i32_e64 s0, 0, v4
	s_delay_alu instid0(VALU_DEP_1) | instskip(NEXT) | instid1(VALU_DEP_1)
	v_cndmask_b32_e64 v4, v4, v31, s0
	v_lshlrev_b32_e32 v4, 2, v4
	ds_bpermute_b32 v2, v4, v2
	s_wait_dscnt 0x0
	v_cndmask_b32_e32 v2, v2, v3, vcc_lo
	v_cmp_eq_u32_e32 vcc_lo, 0, v0
	s_delay_alu instid0(VALU_DEP_2) | instskip(NEXT) | instid1(VALU_DEP_1)
	v_cndmask_b32_e32 v2, v2, v16, vcc_lo
	v_add_nc_u32_e32 v3, v2, v26
	s_delay_alu instid0(VALU_DEP_1) | instskip(NEXT) | instid1(VALU_DEP_1)
	v_add_nc_u32_e32 v4, v3, v27
	v_add_nc_u32_e32 v5, v4, v28
	s_delay_alu instid0(VALU_DEP_1) | instskip(NEXT) | instid1(VALU_DEP_1)
	v_add_nc_u32_e32 v6, v5, v29
	;; [unrolled: 3-line block ×6, first 2 shown]
	v_add_nc_u32_e32 v15, v14, v32
	s_and_saveexec_b32 s0, vcc_lo
	s_cbranch_execz .LBB2_70
; %bb.69:
	v_mov_b32_e32 v18, 0
	ds_load_b32 v17, v18 offset:28
	s_wait_dscnt 0x0
	v_dual_mov_b32 v17, 2 :: v_dual_add_nc_u32 v16, v17, v16
	global_store_b64 v18, v[16:17], s[28:29] offset:256 scope:SCOPE_DEV
.LBB2_70:
	s_wait_xcnt 0x0
	s_or_b32 exec_lo, exec_lo, s0
.LBB2_71:
	s_wait_xcnt 0x0
	s_add_nc_u64 s[0:1], s[20:21], s[24:25]
	s_and_b32 vcc_lo, exec_lo, s33
	s_add_nc_u64 s[0:1], s[0:1], s[26:27]
	s_mov_b32 s2, -1
	s_wait_storecnt 0x0
	s_barrier_signal -1
	s_barrier_wait -1
	s_cbranch_vccz .LBB2_73
; %bb.72:
	ds_store_2addr_b64 v1, v[2:3], v[4:5] offset1:1
	ds_store_2addr_b64 v1, v[6:7], v[8:9] offset0:2 offset1:3
	ds_store_2addr_b64 v1, v[10:11], v[12:13] offset0:4 offset1:5
	ds_store_b64 v1, v[14:15] offset:48
	s_wait_dscnt 0x0
	s_barrier_signal -1
	s_barrier_wait -1
	ds_load_2addr_stride64_b32 v[16:17], v30 offset1:4
	ds_load_2addr_stride64_b32 v[18:19], v30 offset0:8 offset1:12
	ds_load_2addr_stride64_b32 v[20:21], v30 offset0:16 offset1:20
	ds_load_2addr_stride64_b32 v[22:23], v30 offset0:24 offset1:28
	ds_load_2addr_stride64_b32 v[24:25], v30 offset0:32 offset1:36
	ds_load_2addr_stride64_b32 v[26:27], v30 offset0:40 offset1:44
	ds_load_2addr_stride64_b32 v[28:29], v30 offset0:48 offset1:52
	s_mov_b32 s2, 0
	s_wait_dscnt 0x6
	s_clause 0x1
	global_store_b32 v0, v16, s[0:1] scale_offset
	global_store_b32 v0, v17, s[0:1] offset:1024 scale_offset
	s_wait_dscnt 0x5
	s_clause 0x1
	global_store_b32 v0, v18, s[0:1] offset:2048 scale_offset
	global_store_b32 v0, v19, s[0:1] offset:3072 scale_offset
	s_wait_dscnt 0x4
	s_clause 0x1
	global_store_b32 v0, v20, s[0:1] offset:4096 scale_offset
	;; [unrolled: 4-line block ×6, first 2 shown]
	global_store_b32 v0, v29, s[0:1] offset:13312 scale_offset
.LBB2_73:
	s_and_not1_b32 vcc_lo, exec_lo, s2
	s_cbranch_vccnz .LBB2_153
; %bb.74:
	ds_store_2addr_b64 v1, v[2:3], v[4:5] offset1:1
	ds_store_2addr_b64 v1, v[6:7], v[8:9] offset0:2 offset1:3
	ds_store_2addr_b64 v1, v[10:11], v[12:13] offset0:4 offset1:5
	ds_store_b64 v1, v[14:15] offset:48
	s_wait_storecnt_dscnt 0x0
	s_barrier_signal -1
	s_barrier_wait -1
	ds_load_2addr_stride64_b32 v[4:5], v30 offset1:4
	ds_load_2addr_stride64_b32 v[6:7], v30 offset0:8 offset1:12
	ds_load_2addr_stride64_b32 v[8:9], v30 offset0:16 offset1:20
	;; [unrolled: 1-line block ×6, first 2 shown]
	v_mov_b32_e32 v31, 0
	s_wait_xcnt 0xc
	s_delay_alu instid0(VALU_DEP_1)
	v_add_nc_u64_e32 v[16:17], s[0:1], v[30:31]
	s_wait_xcnt 0x0
	s_mov_b32 s0, exec_lo
	v_cmpx_gt_u32_e64 s18, v0
	s_cbranch_execz .LBB2_76
; %bb.75:
	s_wait_dscnt 0x6
	global_store_b32 v[16:17], v4, off
.LBB2_76:
	s_wait_xcnt 0x0
	s_or_b32 exec_lo, exec_lo, s0
	v_or_b32_e32 v1, 0x100, v0
	s_mov_b32 s0, exec_lo
	s_delay_alu instid0(VALU_DEP_1)
	v_cmpx_gt_u32_e64 s18, v1
	s_cbranch_execz .LBB2_78
; %bb.77:
	s_wait_dscnt 0x6
	global_store_b32 v[16:17], v5, off offset:1024
.LBB2_78:
	s_wait_xcnt 0x0
	s_or_b32 exec_lo, exec_lo, s0
	v_or_b32_e32 v1, 0x200, v0
	s_mov_b32 s0, exec_lo
	s_delay_alu instid0(VALU_DEP_1)
	v_cmpx_gt_u32_e64 s18, v1
	s_cbranch_execz .LBB2_80
; %bb.79:
	s_wait_dscnt 0x5
	global_store_b32 v[16:17], v6, off offset:2048
.LBB2_80:
	;; [unrolled: 11-line block ×13, first 2 shown]
	s_wait_xcnt 0x0
	s_or_b32 exec_lo, exec_lo, s0
	s_wait_kmcnt 0x0
	v_cmp_lt_u64_e64 s0, s[10:11], 2
	s_and_b32 vcc_lo, exec_lo, s0
	s_cbranch_vccnz .LBB2_153
; %bb.103:
	s_add_nc_u64 s[0:1], s[18:19], -1
	s_mov_b64 s[4:5], 0xffffffff
	s_lshr_b64 s[2:3], s[0:1], 1
	s_lshr_b32 s8, s1, 1
	s_and_b64 s[2:3], s[2:3], s[4:5]
	s_mov_b32 s9, 0
	s_mul_u64 s[4:5], s[2:3], 0x24924925
	s_mul_u64 s[10:11], s[8:9], 0x24924925
	s_mov_b32 s4, s5
	s_mov_b32 s5, s9
	s_mul_u64 s[2:3], s[2:3], 0x49249249
	s_add_nc_u64 s[4:5], s[10:11], s[4:5]
	s_mov_b32 s11, s9
	s_mov_b32 s10, s5
	s_mov_b32 s5, s9
	v_mov_b32_e32 v1, v31
	s_add_nc_u64 s[2:3], s[2:3], s[4:5]
	s_mul_u64 s[4:5], s[8:9], 0x49249249
	s_mov_b32 s2, s3
	s_mov_b32 s3, s9
	s_delay_alu instid0(SALU_CYCLE_1) | instskip(NEXT) | instid1(SALU_CYCLE_1)
	s_add_nc_u64 s[2:3], s[10:11], s[2:3]
	s_add_nc_u64 s[2:3], s[4:5], s[2:3]
	s_delay_alu instid0(SALU_CYCLE_1) | instskip(NEXT) | instid1(SALU_CYCLE_1)
	s_lshr_b64 s[2:3], s[2:3], 1
	v_cmp_eq_u64_e32 vcc_lo, s[2:3], v[0:1]
	s_and_saveexec_b32 s2, vcc_lo
	s_cbranch_execz .LBB2_153
; %bb.104:
	v_mul_hi_u32_u24_e32 v1, 14, v0
	v_mul_u32_u24_e32 v0, 14, v0
	s_delay_alu instid0(VALU_DEP_1) | instskip(SKIP_1) | instid1(VALU_DEP_1)
	v_sub_nc_u64_e32 v[0:1], s[0:1], v[0:1]
	s_mov_b32 s0, exec_lo
	v_cmpx_lt_i64_e32 6, v[0:1]
	s_xor_b32 s0, exec_lo, s0
	s_cbranch_execz .LBB2_130
; %bb.105:
	s_mov_b32 s1, exec_lo
	v_cmpx_lt_i64_e32 9, v[0:1]
	s_xor_b32 s1, exec_lo, s1
	s_cbranch_execz .LBB2_119
; %bb.106:
	;; [unrolled: 5-line block ×4, first 2 shown]
	v_mov_b32_e32 v0, 0
	s_wait_dscnt 0x0
	global_store_b32 v0, v15, s[6:7]
                                        ; implicit-def: $vgpr14_vgpr15
.LBB2_109:
	s_wait_xcnt 0x0
	s_and_not1_saveexec_b32 s3, s3
	s_cbranch_execz .LBB2_111
; %bb.110:
	v_mov_b32_e32 v0, 0
	s_wait_dscnt 0x0
	global_store_b32 v0, v14, s[6:7]
.LBB2_111:
	s_wait_xcnt 0x0
	s_or_b32 exec_lo, exec_lo, s3
                                        ; implicit-def: $vgpr10_vgpr11
                                        ; implicit-def: $vgpr0_vgpr1
.LBB2_112:
	s_and_not1_saveexec_b32 s2, s2
	s_cbranch_execz .LBB2_118
; %bb.113:
	s_mov_b32 s3, exec_lo
	v_cmpx_lt_i64_e32 10, v[0:1]
	s_xor_b32 s3, exec_lo, s3
	s_cbranch_execz .LBB2_115
; %bb.114:
	v_mov_b32_e32 v0, 0
	s_wait_dscnt 0x1
	global_store_b32 v0, v11, s[6:7]
                                        ; implicit-def: $vgpr10_vgpr11
.LBB2_115:
	s_wait_xcnt 0x0
	s_and_not1_saveexec_b32 s3, s3
	s_cbranch_execz .LBB2_117
; %bb.116:
	v_mov_b32_e32 v0, 0
	s_wait_dscnt 0x1
	global_store_b32 v0, v10, s[6:7]
.LBB2_117:
	s_wait_xcnt 0x0
	s_or_b32 exec_lo, exec_lo, s3
.LBB2_118:
	s_delay_alu instid0(SALU_CYCLE_1)
	s_or_b32 exec_lo, exec_lo, s2
                                        ; implicit-def: $vgpr2_vgpr3
                                        ; implicit-def: $vgpr0_vgpr1
                                        ; implicit-def: $vgpr12_vgpr13
.LBB2_119:
	s_and_not1_saveexec_b32 s1, s1
	s_cbranch_execz .LBB2_129
; %bb.120:
	s_mov_b32 s2, exec_lo
	v_cmpx_lt_i64_e32 7, v[0:1]
	s_xor_b32 s2, exec_lo, s2
	s_cbranch_execz .LBB2_126
; %bb.121:
	s_mov_b32 s3, exec_lo
	v_cmpx_lt_i64_e32 8, v[0:1]
	s_xor_b32 s3, exec_lo, s3
	s_cbranch_execz .LBB2_123
; %bb.122:
	v_mov_b32_e32 v0, 0
	s_wait_dscnt 0x2
	global_store_b32 v0, v13, s[6:7]
                                        ; implicit-def: $vgpr12_vgpr13
.LBB2_123:
	s_wait_xcnt 0x0
	s_and_not1_saveexec_b32 s3, s3
	s_cbranch_execz .LBB2_125
; %bb.124:
	v_mov_b32_e32 v0, 0
	s_wait_dscnt 0x2
	global_store_b32 v0, v12, s[6:7]
.LBB2_125:
	s_wait_xcnt 0x0
	s_or_b32 exec_lo, exec_lo, s3
                                        ; implicit-def: $vgpr2_vgpr3
.LBB2_126:
	s_and_not1_saveexec_b32 s2, s2
	s_cbranch_execz .LBB2_128
; %bb.127:
	v_mov_b32_e32 v0, 0
	s_wait_dscnt 0x3
	global_store_b32 v0, v3, s[6:7]
.LBB2_128:
	s_wait_xcnt 0x0
	s_or_b32 exec_lo, exec_lo, s2
.LBB2_129:
	s_delay_alu instid0(SALU_CYCLE_1)
	s_or_b32 exec_lo, exec_lo, s1
                                        ; implicit-def: $vgpr0_vgpr1
                                        ; implicit-def: $vgpr8_vgpr9
                                        ; implicit-def: $vgpr4_vgpr5
                                        ; implicit-def: $vgpr6_vgpr7
                                        ; implicit-def: $vgpr2_vgpr3
.LBB2_130:
	s_and_not1_saveexec_b32 s0, s0
	s_cbranch_execz .LBB2_153
; %bb.131:
	s_mov_b32 s0, exec_lo
	v_cmpx_lt_i64_e32 3, v[0:1]
	s_xor_b32 s0, exec_lo, s0
	s_cbranch_execz .LBB2_141
; %bb.132:
	s_mov_b32 s1, exec_lo
	v_cmpx_lt_i64_e32 4, v[0:1]
	s_xor_b32 s1, exec_lo, s1
	;; [unrolled: 5-line block ×3, first 2 shown]
	s_cbranch_execz .LBB2_135
; %bb.134:
	v_mov_b32_e32 v0, 0
                                        ; implicit-def: $vgpr8_vgpr9
	s_wait_dscnt 0x3
	global_store_b32 v0, v2, s[6:7]
.LBB2_135:
	s_wait_xcnt 0x0
	s_and_not1_saveexec_b32 s2, s2
	s_cbranch_execz .LBB2_137
; %bb.136:
	v_mov_b32_e32 v0, 0
	s_wait_dscnt 0x4
	global_store_b32 v0, v9, s[6:7]
.LBB2_137:
	s_wait_xcnt 0x0
	s_or_b32 exec_lo, exec_lo, s2
                                        ; implicit-def: $vgpr8_vgpr9
.LBB2_138:
	s_and_not1_saveexec_b32 s1, s1
	s_cbranch_execz .LBB2_140
; %bb.139:
	v_mov_b32_e32 v0, 0
	s_wait_dscnt 0x4
	global_store_b32 v0, v8, s[6:7]
.LBB2_140:
	s_wait_xcnt 0x0
	s_or_b32 exec_lo, exec_lo, s1
                                        ; implicit-def: $vgpr0_vgpr1
                                        ; implicit-def: $vgpr4_vgpr5
                                        ; implicit-def: $vgpr6_vgpr7
.LBB2_141:
	s_and_not1_saveexec_b32 s0, s0
	s_cbranch_execz .LBB2_153
; %bb.142:
	s_mov_b32 s0, exec_lo
	v_cmpx_lt_i64_e32 1, v[0:1]
	s_xor_b32 s0, exec_lo, s0
	s_cbranch_execz .LBB2_148
; %bb.143:
	s_mov_b32 s1, exec_lo
	v_cmpx_lt_i64_e32 2, v[0:1]
	s_xor_b32 s1, exec_lo, s1
	s_cbranch_execz .LBB2_145
; %bb.144:
	v_mov_b32_e32 v0, 0
	s_wait_dscnt 0x5
	global_store_b32 v0, v7, s[6:7]
                                        ; implicit-def: $vgpr6_vgpr7
.LBB2_145:
	s_wait_xcnt 0x0
	s_and_not1_saveexec_b32 s1, s1
	s_cbranch_execz .LBB2_147
; %bb.146:
	v_mov_b32_e32 v0, 0
	s_wait_dscnt 0x5
	global_store_b32 v0, v6, s[6:7]
.LBB2_147:
	s_wait_xcnt 0x0
	s_or_b32 exec_lo, exec_lo, s1
                                        ; implicit-def: $vgpr4_vgpr5
                                        ; implicit-def: $vgpr0_vgpr1
.LBB2_148:
	s_and_not1_saveexec_b32 s0, s0
	s_cbranch_execz .LBB2_153
; %bb.149:
	s_mov_b32 s0, exec_lo
	v_cmpx_ne_u64_e32 1, v[0:1]
	s_xor_b32 s0, exec_lo, s0
	s_cbranch_execz .LBB2_151
; %bb.150:
	v_mov_b32_e32 v0, 0
	s_wait_dscnt 0x6
	global_store_b32 v0, v4, s[6:7]
                                        ; implicit-def: $vgpr4_vgpr5
.LBB2_151:
	s_wait_xcnt 0x0
	s_and_not1_saveexec_b32 s0, s0
	s_cbranch_execz .LBB2_153
; %bb.152:
	v_mov_b32_e32 v0, 0
	s_wait_dscnt 0x6
	global_store_b32 v0, v5, s[6:7]
.LBB2_153:
	s_endpgm
	.section	.rodata,"a",@progbits
	.p2align	6, 0x0
	.amdhsa_kernel _ZN7rocprim17ROCPRIM_400000_NS6detail17trampoline_kernelINS0_14default_configENS1_20scan_config_selectorIjEEZZNS1_9scan_implILNS1_25lookback_scan_determinismE0ELb1ELb1ES3_PjS8_jN6hipcub16HIPCUB_304000_NS3SumEjEEDaPvRmT3_T4_T5_mT6_P12ihipStream_tbENKUlT_T0_E_clISt17integral_constantIbLb0EESP_EEDaSK_SL_EUlSK_E_NS1_11comp_targetILNS1_3genE0ELNS1_11target_archE4294967295ELNS1_3gpuE0ELNS1_3repE0EEENS1_30default_config_static_selectorELNS0_4arch9wavefront6targetE0EEEvT1_
		.amdhsa_group_segment_fixed_size 14336
		.amdhsa_private_segment_fixed_size 0
		.amdhsa_kernarg_size 96
		.amdhsa_user_sgpr_count 2
		.amdhsa_user_sgpr_dispatch_ptr 0
		.amdhsa_user_sgpr_queue_ptr 0
		.amdhsa_user_sgpr_kernarg_segment_ptr 1
		.amdhsa_user_sgpr_dispatch_id 0
		.amdhsa_user_sgpr_kernarg_preload_length 0
		.amdhsa_user_sgpr_kernarg_preload_offset 0
		.amdhsa_user_sgpr_private_segment_size 0
		.amdhsa_wavefront_size32 1
		.amdhsa_uses_dynamic_stack 0
		.amdhsa_enable_private_segment 0
		.amdhsa_system_sgpr_workgroup_id_x 1
		.amdhsa_system_sgpr_workgroup_id_y 0
		.amdhsa_system_sgpr_workgroup_id_z 0
		.amdhsa_system_sgpr_workgroup_info 0
		.amdhsa_system_vgpr_workitem_id 0
		.amdhsa_next_free_vgpr 42
		.amdhsa_next_free_sgpr 37
		.amdhsa_named_barrier_count 0
		.amdhsa_reserve_vcc 1
		.amdhsa_float_round_mode_32 0
		.amdhsa_float_round_mode_16_64 0
		.amdhsa_float_denorm_mode_32 3
		.amdhsa_float_denorm_mode_16_64 3
		.amdhsa_fp16_overflow 0
		.amdhsa_memory_ordered 1
		.amdhsa_forward_progress 1
		.amdhsa_inst_pref_size 45
		.amdhsa_round_robin_scheduling 0
		.amdhsa_exception_fp_ieee_invalid_op 0
		.amdhsa_exception_fp_denorm_src 0
		.amdhsa_exception_fp_ieee_div_zero 0
		.amdhsa_exception_fp_ieee_overflow 0
		.amdhsa_exception_fp_ieee_underflow 0
		.amdhsa_exception_fp_ieee_inexact 0
		.amdhsa_exception_int_div_zero 0
	.end_amdhsa_kernel
	.section	.text._ZN7rocprim17ROCPRIM_400000_NS6detail17trampoline_kernelINS0_14default_configENS1_20scan_config_selectorIjEEZZNS1_9scan_implILNS1_25lookback_scan_determinismE0ELb1ELb1ES3_PjS8_jN6hipcub16HIPCUB_304000_NS3SumEjEEDaPvRmT3_T4_T5_mT6_P12ihipStream_tbENKUlT_T0_E_clISt17integral_constantIbLb0EESP_EEDaSK_SL_EUlSK_E_NS1_11comp_targetILNS1_3genE0ELNS1_11target_archE4294967295ELNS1_3gpuE0ELNS1_3repE0EEENS1_30default_config_static_selectorELNS0_4arch9wavefront6targetE0EEEvT1_,"axG",@progbits,_ZN7rocprim17ROCPRIM_400000_NS6detail17trampoline_kernelINS0_14default_configENS1_20scan_config_selectorIjEEZZNS1_9scan_implILNS1_25lookback_scan_determinismE0ELb1ELb1ES3_PjS8_jN6hipcub16HIPCUB_304000_NS3SumEjEEDaPvRmT3_T4_T5_mT6_P12ihipStream_tbENKUlT_T0_E_clISt17integral_constantIbLb0EESP_EEDaSK_SL_EUlSK_E_NS1_11comp_targetILNS1_3genE0ELNS1_11target_archE4294967295ELNS1_3gpuE0ELNS1_3repE0EEENS1_30default_config_static_selectorELNS0_4arch9wavefront6targetE0EEEvT1_,comdat
.Lfunc_end2:
	.size	_ZN7rocprim17ROCPRIM_400000_NS6detail17trampoline_kernelINS0_14default_configENS1_20scan_config_selectorIjEEZZNS1_9scan_implILNS1_25lookback_scan_determinismE0ELb1ELb1ES3_PjS8_jN6hipcub16HIPCUB_304000_NS3SumEjEEDaPvRmT3_T4_T5_mT6_P12ihipStream_tbENKUlT_T0_E_clISt17integral_constantIbLb0EESP_EEDaSK_SL_EUlSK_E_NS1_11comp_targetILNS1_3genE0ELNS1_11target_archE4294967295ELNS1_3gpuE0ELNS1_3repE0EEENS1_30default_config_static_selectorELNS0_4arch9wavefront6targetE0EEEvT1_, .Lfunc_end2-_ZN7rocprim17ROCPRIM_400000_NS6detail17trampoline_kernelINS0_14default_configENS1_20scan_config_selectorIjEEZZNS1_9scan_implILNS1_25lookback_scan_determinismE0ELb1ELb1ES3_PjS8_jN6hipcub16HIPCUB_304000_NS3SumEjEEDaPvRmT3_T4_T5_mT6_P12ihipStream_tbENKUlT_T0_E_clISt17integral_constantIbLb0EESP_EEDaSK_SL_EUlSK_E_NS1_11comp_targetILNS1_3genE0ELNS1_11target_archE4294967295ELNS1_3gpuE0ELNS1_3repE0EEENS1_30default_config_static_selectorELNS0_4arch9wavefront6targetE0EEEvT1_
                                        ; -- End function
	.set _ZN7rocprim17ROCPRIM_400000_NS6detail17trampoline_kernelINS0_14default_configENS1_20scan_config_selectorIjEEZZNS1_9scan_implILNS1_25lookback_scan_determinismE0ELb1ELb1ES3_PjS8_jN6hipcub16HIPCUB_304000_NS3SumEjEEDaPvRmT3_T4_T5_mT6_P12ihipStream_tbENKUlT_T0_E_clISt17integral_constantIbLb0EESP_EEDaSK_SL_EUlSK_E_NS1_11comp_targetILNS1_3genE0ELNS1_11target_archE4294967295ELNS1_3gpuE0ELNS1_3repE0EEENS1_30default_config_static_selectorELNS0_4arch9wavefront6targetE0EEEvT1_.num_vgpr, 42
	.set _ZN7rocprim17ROCPRIM_400000_NS6detail17trampoline_kernelINS0_14default_configENS1_20scan_config_selectorIjEEZZNS1_9scan_implILNS1_25lookback_scan_determinismE0ELb1ELb1ES3_PjS8_jN6hipcub16HIPCUB_304000_NS3SumEjEEDaPvRmT3_T4_T5_mT6_P12ihipStream_tbENKUlT_T0_E_clISt17integral_constantIbLb0EESP_EEDaSK_SL_EUlSK_E_NS1_11comp_targetILNS1_3genE0ELNS1_11target_archE4294967295ELNS1_3gpuE0ELNS1_3repE0EEENS1_30default_config_static_selectorELNS0_4arch9wavefront6targetE0EEEvT1_.num_agpr, 0
	.set _ZN7rocprim17ROCPRIM_400000_NS6detail17trampoline_kernelINS0_14default_configENS1_20scan_config_selectorIjEEZZNS1_9scan_implILNS1_25lookback_scan_determinismE0ELb1ELb1ES3_PjS8_jN6hipcub16HIPCUB_304000_NS3SumEjEEDaPvRmT3_T4_T5_mT6_P12ihipStream_tbENKUlT_T0_E_clISt17integral_constantIbLb0EESP_EEDaSK_SL_EUlSK_E_NS1_11comp_targetILNS1_3genE0ELNS1_11target_archE4294967295ELNS1_3gpuE0ELNS1_3repE0EEENS1_30default_config_static_selectorELNS0_4arch9wavefront6targetE0EEEvT1_.numbered_sgpr, 37
	.set _ZN7rocprim17ROCPRIM_400000_NS6detail17trampoline_kernelINS0_14default_configENS1_20scan_config_selectorIjEEZZNS1_9scan_implILNS1_25lookback_scan_determinismE0ELb1ELb1ES3_PjS8_jN6hipcub16HIPCUB_304000_NS3SumEjEEDaPvRmT3_T4_T5_mT6_P12ihipStream_tbENKUlT_T0_E_clISt17integral_constantIbLb0EESP_EEDaSK_SL_EUlSK_E_NS1_11comp_targetILNS1_3genE0ELNS1_11target_archE4294967295ELNS1_3gpuE0ELNS1_3repE0EEENS1_30default_config_static_selectorELNS0_4arch9wavefront6targetE0EEEvT1_.num_named_barrier, 0
	.set _ZN7rocprim17ROCPRIM_400000_NS6detail17trampoline_kernelINS0_14default_configENS1_20scan_config_selectorIjEEZZNS1_9scan_implILNS1_25lookback_scan_determinismE0ELb1ELb1ES3_PjS8_jN6hipcub16HIPCUB_304000_NS3SumEjEEDaPvRmT3_T4_T5_mT6_P12ihipStream_tbENKUlT_T0_E_clISt17integral_constantIbLb0EESP_EEDaSK_SL_EUlSK_E_NS1_11comp_targetILNS1_3genE0ELNS1_11target_archE4294967295ELNS1_3gpuE0ELNS1_3repE0EEENS1_30default_config_static_selectorELNS0_4arch9wavefront6targetE0EEEvT1_.private_seg_size, 0
	.set _ZN7rocprim17ROCPRIM_400000_NS6detail17trampoline_kernelINS0_14default_configENS1_20scan_config_selectorIjEEZZNS1_9scan_implILNS1_25lookback_scan_determinismE0ELb1ELb1ES3_PjS8_jN6hipcub16HIPCUB_304000_NS3SumEjEEDaPvRmT3_T4_T5_mT6_P12ihipStream_tbENKUlT_T0_E_clISt17integral_constantIbLb0EESP_EEDaSK_SL_EUlSK_E_NS1_11comp_targetILNS1_3genE0ELNS1_11target_archE4294967295ELNS1_3gpuE0ELNS1_3repE0EEENS1_30default_config_static_selectorELNS0_4arch9wavefront6targetE0EEEvT1_.uses_vcc, 1
	.set _ZN7rocprim17ROCPRIM_400000_NS6detail17trampoline_kernelINS0_14default_configENS1_20scan_config_selectorIjEEZZNS1_9scan_implILNS1_25lookback_scan_determinismE0ELb1ELb1ES3_PjS8_jN6hipcub16HIPCUB_304000_NS3SumEjEEDaPvRmT3_T4_T5_mT6_P12ihipStream_tbENKUlT_T0_E_clISt17integral_constantIbLb0EESP_EEDaSK_SL_EUlSK_E_NS1_11comp_targetILNS1_3genE0ELNS1_11target_archE4294967295ELNS1_3gpuE0ELNS1_3repE0EEENS1_30default_config_static_selectorELNS0_4arch9wavefront6targetE0EEEvT1_.uses_flat_scratch, 0
	.set _ZN7rocprim17ROCPRIM_400000_NS6detail17trampoline_kernelINS0_14default_configENS1_20scan_config_selectorIjEEZZNS1_9scan_implILNS1_25lookback_scan_determinismE0ELb1ELb1ES3_PjS8_jN6hipcub16HIPCUB_304000_NS3SumEjEEDaPvRmT3_T4_T5_mT6_P12ihipStream_tbENKUlT_T0_E_clISt17integral_constantIbLb0EESP_EEDaSK_SL_EUlSK_E_NS1_11comp_targetILNS1_3genE0ELNS1_11target_archE4294967295ELNS1_3gpuE0ELNS1_3repE0EEENS1_30default_config_static_selectorELNS0_4arch9wavefront6targetE0EEEvT1_.has_dyn_sized_stack, 0
	.set _ZN7rocprim17ROCPRIM_400000_NS6detail17trampoline_kernelINS0_14default_configENS1_20scan_config_selectorIjEEZZNS1_9scan_implILNS1_25lookback_scan_determinismE0ELb1ELb1ES3_PjS8_jN6hipcub16HIPCUB_304000_NS3SumEjEEDaPvRmT3_T4_T5_mT6_P12ihipStream_tbENKUlT_T0_E_clISt17integral_constantIbLb0EESP_EEDaSK_SL_EUlSK_E_NS1_11comp_targetILNS1_3genE0ELNS1_11target_archE4294967295ELNS1_3gpuE0ELNS1_3repE0EEENS1_30default_config_static_selectorELNS0_4arch9wavefront6targetE0EEEvT1_.has_recursion, 0
	.set _ZN7rocprim17ROCPRIM_400000_NS6detail17trampoline_kernelINS0_14default_configENS1_20scan_config_selectorIjEEZZNS1_9scan_implILNS1_25lookback_scan_determinismE0ELb1ELb1ES3_PjS8_jN6hipcub16HIPCUB_304000_NS3SumEjEEDaPvRmT3_T4_T5_mT6_P12ihipStream_tbENKUlT_T0_E_clISt17integral_constantIbLb0EESP_EEDaSK_SL_EUlSK_E_NS1_11comp_targetILNS1_3genE0ELNS1_11target_archE4294967295ELNS1_3gpuE0ELNS1_3repE0EEENS1_30default_config_static_selectorELNS0_4arch9wavefront6targetE0EEEvT1_.has_indirect_call, 0
	.section	.AMDGPU.csdata,"",@progbits
; Kernel info:
; codeLenInByte = 5668
; TotalNumSgprs: 39
; NumVgprs: 42
; ScratchSize: 0
; MemoryBound: 0
; FloatMode: 240
; IeeeMode: 1
; LDSByteSize: 14336 bytes/workgroup (compile time only)
; SGPRBlocks: 0
; VGPRBlocks: 2
; NumSGPRsForWavesPerEU: 39
; NumVGPRsForWavesPerEU: 42
; NamedBarCnt: 0
; Occupancy: 16
; WaveLimiterHint : 1
; COMPUTE_PGM_RSRC2:SCRATCH_EN: 0
; COMPUTE_PGM_RSRC2:USER_SGPR: 2
; COMPUTE_PGM_RSRC2:TRAP_HANDLER: 0
; COMPUTE_PGM_RSRC2:TGID_X_EN: 1
; COMPUTE_PGM_RSRC2:TGID_Y_EN: 0
; COMPUTE_PGM_RSRC2:TGID_Z_EN: 0
; COMPUTE_PGM_RSRC2:TIDIG_COMP_CNT: 0
	.section	.text._ZN7rocprim17ROCPRIM_400000_NS6detail17trampoline_kernelINS0_14default_configENS1_20scan_config_selectorIjEEZZNS1_9scan_implILNS1_25lookback_scan_determinismE0ELb1ELb1ES3_PjS8_jN6hipcub16HIPCUB_304000_NS3SumEjEEDaPvRmT3_T4_T5_mT6_P12ihipStream_tbENKUlT_T0_E_clISt17integral_constantIbLb0EESP_EEDaSK_SL_EUlSK_E_NS1_11comp_targetILNS1_3genE5ELNS1_11target_archE942ELNS1_3gpuE9ELNS1_3repE0EEENS1_30default_config_static_selectorELNS0_4arch9wavefront6targetE0EEEvT1_,"axG",@progbits,_ZN7rocprim17ROCPRIM_400000_NS6detail17trampoline_kernelINS0_14default_configENS1_20scan_config_selectorIjEEZZNS1_9scan_implILNS1_25lookback_scan_determinismE0ELb1ELb1ES3_PjS8_jN6hipcub16HIPCUB_304000_NS3SumEjEEDaPvRmT3_T4_T5_mT6_P12ihipStream_tbENKUlT_T0_E_clISt17integral_constantIbLb0EESP_EEDaSK_SL_EUlSK_E_NS1_11comp_targetILNS1_3genE5ELNS1_11target_archE942ELNS1_3gpuE9ELNS1_3repE0EEENS1_30default_config_static_selectorELNS0_4arch9wavefront6targetE0EEEvT1_,comdat
	.protected	_ZN7rocprim17ROCPRIM_400000_NS6detail17trampoline_kernelINS0_14default_configENS1_20scan_config_selectorIjEEZZNS1_9scan_implILNS1_25lookback_scan_determinismE0ELb1ELb1ES3_PjS8_jN6hipcub16HIPCUB_304000_NS3SumEjEEDaPvRmT3_T4_T5_mT6_P12ihipStream_tbENKUlT_T0_E_clISt17integral_constantIbLb0EESP_EEDaSK_SL_EUlSK_E_NS1_11comp_targetILNS1_3genE5ELNS1_11target_archE942ELNS1_3gpuE9ELNS1_3repE0EEENS1_30default_config_static_selectorELNS0_4arch9wavefront6targetE0EEEvT1_ ; -- Begin function _ZN7rocprim17ROCPRIM_400000_NS6detail17trampoline_kernelINS0_14default_configENS1_20scan_config_selectorIjEEZZNS1_9scan_implILNS1_25lookback_scan_determinismE0ELb1ELb1ES3_PjS8_jN6hipcub16HIPCUB_304000_NS3SumEjEEDaPvRmT3_T4_T5_mT6_P12ihipStream_tbENKUlT_T0_E_clISt17integral_constantIbLb0EESP_EEDaSK_SL_EUlSK_E_NS1_11comp_targetILNS1_3genE5ELNS1_11target_archE942ELNS1_3gpuE9ELNS1_3repE0EEENS1_30default_config_static_selectorELNS0_4arch9wavefront6targetE0EEEvT1_
	.globl	_ZN7rocprim17ROCPRIM_400000_NS6detail17trampoline_kernelINS0_14default_configENS1_20scan_config_selectorIjEEZZNS1_9scan_implILNS1_25lookback_scan_determinismE0ELb1ELb1ES3_PjS8_jN6hipcub16HIPCUB_304000_NS3SumEjEEDaPvRmT3_T4_T5_mT6_P12ihipStream_tbENKUlT_T0_E_clISt17integral_constantIbLb0EESP_EEDaSK_SL_EUlSK_E_NS1_11comp_targetILNS1_3genE5ELNS1_11target_archE942ELNS1_3gpuE9ELNS1_3repE0EEENS1_30default_config_static_selectorELNS0_4arch9wavefront6targetE0EEEvT1_
	.p2align	8
	.type	_ZN7rocprim17ROCPRIM_400000_NS6detail17trampoline_kernelINS0_14default_configENS1_20scan_config_selectorIjEEZZNS1_9scan_implILNS1_25lookback_scan_determinismE0ELb1ELb1ES3_PjS8_jN6hipcub16HIPCUB_304000_NS3SumEjEEDaPvRmT3_T4_T5_mT6_P12ihipStream_tbENKUlT_T0_E_clISt17integral_constantIbLb0EESP_EEDaSK_SL_EUlSK_E_NS1_11comp_targetILNS1_3genE5ELNS1_11target_archE942ELNS1_3gpuE9ELNS1_3repE0EEENS1_30default_config_static_selectorELNS0_4arch9wavefront6targetE0EEEvT1_,@function
_ZN7rocprim17ROCPRIM_400000_NS6detail17trampoline_kernelINS0_14default_configENS1_20scan_config_selectorIjEEZZNS1_9scan_implILNS1_25lookback_scan_determinismE0ELb1ELb1ES3_PjS8_jN6hipcub16HIPCUB_304000_NS3SumEjEEDaPvRmT3_T4_T5_mT6_P12ihipStream_tbENKUlT_T0_E_clISt17integral_constantIbLb0EESP_EEDaSK_SL_EUlSK_E_NS1_11comp_targetILNS1_3genE5ELNS1_11target_archE942ELNS1_3gpuE9ELNS1_3repE0EEENS1_30default_config_static_selectorELNS0_4arch9wavefront6targetE0EEEvT1_: ; @_ZN7rocprim17ROCPRIM_400000_NS6detail17trampoline_kernelINS0_14default_configENS1_20scan_config_selectorIjEEZZNS1_9scan_implILNS1_25lookback_scan_determinismE0ELb1ELb1ES3_PjS8_jN6hipcub16HIPCUB_304000_NS3SumEjEEDaPvRmT3_T4_T5_mT6_P12ihipStream_tbENKUlT_T0_E_clISt17integral_constantIbLb0EESP_EEDaSK_SL_EUlSK_E_NS1_11comp_targetILNS1_3genE5ELNS1_11target_archE942ELNS1_3gpuE9ELNS1_3repE0EEENS1_30default_config_static_selectorELNS0_4arch9wavefront6targetE0EEEvT1_
; %bb.0:
	.section	.rodata,"a",@progbits
	.p2align	6, 0x0
	.amdhsa_kernel _ZN7rocprim17ROCPRIM_400000_NS6detail17trampoline_kernelINS0_14default_configENS1_20scan_config_selectorIjEEZZNS1_9scan_implILNS1_25lookback_scan_determinismE0ELb1ELb1ES3_PjS8_jN6hipcub16HIPCUB_304000_NS3SumEjEEDaPvRmT3_T4_T5_mT6_P12ihipStream_tbENKUlT_T0_E_clISt17integral_constantIbLb0EESP_EEDaSK_SL_EUlSK_E_NS1_11comp_targetILNS1_3genE5ELNS1_11target_archE942ELNS1_3gpuE9ELNS1_3repE0EEENS1_30default_config_static_selectorELNS0_4arch9wavefront6targetE0EEEvT1_
		.amdhsa_group_segment_fixed_size 0
		.amdhsa_private_segment_fixed_size 0
		.amdhsa_kernarg_size 96
		.amdhsa_user_sgpr_count 2
		.amdhsa_user_sgpr_dispatch_ptr 0
		.amdhsa_user_sgpr_queue_ptr 0
		.amdhsa_user_sgpr_kernarg_segment_ptr 1
		.amdhsa_user_sgpr_dispatch_id 0
		.amdhsa_user_sgpr_kernarg_preload_length 0
		.amdhsa_user_sgpr_kernarg_preload_offset 0
		.amdhsa_user_sgpr_private_segment_size 0
		.amdhsa_wavefront_size32 1
		.amdhsa_uses_dynamic_stack 0
		.amdhsa_enable_private_segment 0
		.amdhsa_system_sgpr_workgroup_id_x 1
		.amdhsa_system_sgpr_workgroup_id_y 0
		.amdhsa_system_sgpr_workgroup_id_z 0
		.amdhsa_system_sgpr_workgroup_info 0
		.amdhsa_system_vgpr_workitem_id 0
		.amdhsa_next_free_vgpr 1
		.amdhsa_next_free_sgpr 1
		.amdhsa_named_barrier_count 0
		.amdhsa_reserve_vcc 0
		.amdhsa_float_round_mode_32 0
		.amdhsa_float_round_mode_16_64 0
		.amdhsa_float_denorm_mode_32 3
		.amdhsa_float_denorm_mode_16_64 3
		.amdhsa_fp16_overflow 0
		.amdhsa_memory_ordered 1
		.amdhsa_forward_progress 1
		.amdhsa_inst_pref_size 0
		.amdhsa_round_robin_scheduling 0
		.amdhsa_exception_fp_ieee_invalid_op 0
		.amdhsa_exception_fp_denorm_src 0
		.amdhsa_exception_fp_ieee_div_zero 0
		.amdhsa_exception_fp_ieee_overflow 0
		.amdhsa_exception_fp_ieee_underflow 0
		.amdhsa_exception_fp_ieee_inexact 0
		.amdhsa_exception_int_div_zero 0
	.end_amdhsa_kernel
	.section	.text._ZN7rocprim17ROCPRIM_400000_NS6detail17trampoline_kernelINS0_14default_configENS1_20scan_config_selectorIjEEZZNS1_9scan_implILNS1_25lookback_scan_determinismE0ELb1ELb1ES3_PjS8_jN6hipcub16HIPCUB_304000_NS3SumEjEEDaPvRmT3_T4_T5_mT6_P12ihipStream_tbENKUlT_T0_E_clISt17integral_constantIbLb0EESP_EEDaSK_SL_EUlSK_E_NS1_11comp_targetILNS1_3genE5ELNS1_11target_archE942ELNS1_3gpuE9ELNS1_3repE0EEENS1_30default_config_static_selectorELNS0_4arch9wavefront6targetE0EEEvT1_,"axG",@progbits,_ZN7rocprim17ROCPRIM_400000_NS6detail17trampoline_kernelINS0_14default_configENS1_20scan_config_selectorIjEEZZNS1_9scan_implILNS1_25lookback_scan_determinismE0ELb1ELb1ES3_PjS8_jN6hipcub16HIPCUB_304000_NS3SumEjEEDaPvRmT3_T4_T5_mT6_P12ihipStream_tbENKUlT_T0_E_clISt17integral_constantIbLb0EESP_EEDaSK_SL_EUlSK_E_NS1_11comp_targetILNS1_3genE5ELNS1_11target_archE942ELNS1_3gpuE9ELNS1_3repE0EEENS1_30default_config_static_selectorELNS0_4arch9wavefront6targetE0EEEvT1_,comdat
.Lfunc_end3:
	.size	_ZN7rocprim17ROCPRIM_400000_NS6detail17trampoline_kernelINS0_14default_configENS1_20scan_config_selectorIjEEZZNS1_9scan_implILNS1_25lookback_scan_determinismE0ELb1ELb1ES3_PjS8_jN6hipcub16HIPCUB_304000_NS3SumEjEEDaPvRmT3_T4_T5_mT6_P12ihipStream_tbENKUlT_T0_E_clISt17integral_constantIbLb0EESP_EEDaSK_SL_EUlSK_E_NS1_11comp_targetILNS1_3genE5ELNS1_11target_archE942ELNS1_3gpuE9ELNS1_3repE0EEENS1_30default_config_static_selectorELNS0_4arch9wavefront6targetE0EEEvT1_, .Lfunc_end3-_ZN7rocprim17ROCPRIM_400000_NS6detail17trampoline_kernelINS0_14default_configENS1_20scan_config_selectorIjEEZZNS1_9scan_implILNS1_25lookback_scan_determinismE0ELb1ELb1ES3_PjS8_jN6hipcub16HIPCUB_304000_NS3SumEjEEDaPvRmT3_T4_T5_mT6_P12ihipStream_tbENKUlT_T0_E_clISt17integral_constantIbLb0EESP_EEDaSK_SL_EUlSK_E_NS1_11comp_targetILNS1_3genE5ELNS1_11target_archE942ELNS1_3gpuE9ELNS1_3repE0EEENS1_30default_config_static_selectorELNS0_4arch9wavefront6targetE0EEEvT1_
                                        ; -- End function
	.set _ZN7rocprim17ROCPRIM_400000_NS6detail17trampoline_kernelINS0_14default_configENS1_20scan_config_selectorIjEEZZNS1_9scan_implILNS1_25lookback_scan_determinismE0ELb1ELb1ES3_PjS8_jN6hipcub16HIPCUB_304000_NS3SumEjEEDaPvRmT3_T4_T5_mT6_P12ihipStream_tbENKUlT_T0_E_clISt17integral_constantIbLb0EESP_EEDaSK_SL_EUlSK_E_NS1_11comp_targetILNS1_3genE5ELNS1_11target_archE942ELNS1_3gpuE9ELNS1_3repE0EEENS1_30default_config_static_selectorELNS0_4arch9wavefront6targetE0EEEvT1_.num_vgpr, 0
	.set _ZN7rocprim17ROCPRIM_400000_NS6detail17trampoline_kernelINS0_14default_configENS1_20scan_config_selectorIjEEZZNS1_9scan_implILNS1_25lookback_scan_determinismE0ELb1ELb1ES3_PjS8_jN6hipcub16HIPCUB_304000_NS3SumEjEEDaPvRmT3_T4_T5_mT6_P12ihipStream_tbENKUlT_T0_E_clISt17integral_constantIbLb0EESP_EEDaSK_SL_EUlSK_E_NS1_11comp_targetILNS1_3genE5ELNS1_11target_archE942ELNS1_3gpuE9ELNS1_3repE0EEENS1_30default_config_static_selectorELNS0_4arch9wavefront6targetE0EEEvT1_.num_agpr, 0
	.set _ZN7rocprim17ROCPRIM_400000_NS6detail17trampoline_kernelINS0_14default_configENS1_20scan_config_selectorIjEEZZNS1_9scan_implILNS1_25lookback_scan_determinismE0ELb1ELb1ES3_PjS8_jN6hipcub16HIPCUB_304000_NS3SumEjEEDaPvRmT3_T4_T5_mT6_P12ihipStream_tbENKUlT_T0_E_clISt17integral_constantIbLb0EESP_EEDaSK_SL_EUlSK_E_NS1_11comp_targetILNS1_3genE5ELNS1_11target_archE942ELNS1_3gpuE9ELNS1_3repE0EEENS1_30default_config_static_selectorELNS0_4arch9wavefront6targetE0EEEvT1_.numbered_sgpr, 0
	.set _ZN7rocprim17ROCPRIM_400000_NS6detail17trampoline_kernelINS0_14default_configENS1_20scan_config_selectorIjEEZZNS1_9scan_implILNS1_25lookback_scan_determinismE0ELb1ELb1ES3_PjS8_jN6hipcub16HIPCUB_304000_NS3SumEjEEDaPvRmT3_T4_T5_mT6_P12ihipStream_tbENKUlT_T0_E_clISt17integral_constantIbLb0EESP_EEDaSK_SL_EUlSK_E_NS1_11comp_targetILNS1_3genE5ELNS1_11target_archE942ELNS1_3gpuE9ELNS1_3repE0EEENS1_30default_config_static_selectorELNS0_4arch9wavefront6targetE0EEEvT1_.num_named_barrier, 0
	.set _ZN7rocprim17ROCPRIM_400000_NS6detail17trampoline_kernelINS0_14default_configENS1_20scan_config_selectorIjEEZZNS1_9scan_implILNS1_25lookback_scan_determinismE0ELb1ELb1ES3_PjS8_jN6hipcub16HIPCUB_304000_NS3SumEjEEDaPvRmT3_T4_T5_mT6_P12ihipStream_tbENKUlT_T0_E_clISt17integral_constantIbLb0EESP_EEDaSK_SL_EUlSK_E_NS1_11comp_targetILNS1_3genE5ELNS1_11target_archE942ELNS1_3gpuE9ELNS1_3repE0EEENS1_30default_config_static_selectorELNS0_4arch9wavefront6targetE0EEEvT1_.private_seg_size, 0
	.set _ZN7rocprim17ROCPRIM_400000_NS6detail17trampoline_kernelINS0_14default_configENS1_20scan_config_selectorIjEEZZNS1_9scan_implILNS1_25lookback_scan_determinismE0ELb1ELb1ES3_PjS8_jN6hipcub16HIPCUB_304000_NS3SumEjEEDaPvRmT3_T4_T5_mT6_P12ihipStream_tbENKUlT_T0_E_clISt17integral_constantIbLb0EESP_EEDaSK_SL_EUlSK_E_NS1_11comp_targetILNS1_3genE5ELNS1_11target_archE942ELNS1_3gpuE9ELNS1_3repE0EEENS1_30default_config_static_selectorELNS0_4arch9wavefront6targetE0EEEvT1_.uses_vcc, 0
	.set _ZN7rocprim17ROCPRIM_400000_NS6detail17trampoline_kernelINS0_14default_configENS1_20scan_config_selectorIjEEZZNS1_9scan_implILNS1_25lookback_scan_determinismE0ELb1ELb1ES3_PjS8_jN6hipcub16HIPCUB_304000_NS3SumEjEEDaPvRmT3_T4_T5_mT6_P12ihipStream_tbENKUlT_T0_E_clISt17integral_constantIbLb0EESP_EEDaSK_SL_EUlSK_E_NS1_11comp_targetILNS1_3genE5ELNS1_11target_archE942ELNS1_3gpuE9ELNS1_3repE0EEENS1_30default_config_static_selectorELNS0_4arch9wavefront6targetE0EEEvT1_.uses_flat_scratch, 0
	.set _ZN7rocprim17ROCPRIM_400000_NS6detail17trampoline_kernelINS0_14default_configENS1_20scan_config_selectorIjEEZZNS1_9scan_implILNS1_25lookback_scan_determinismE0ELb1ELb1ES3_PjS8_jN6hipcub16HIPCUB_304000_NS3SumEjEEDaPvRmT3_T4_T5_mT6_P12ihipStream_tbENKUlT_T0_E_clISt17integral_constantIbLb0EESP_EEDaSK_SL_EUlSK_E_NS1_11comp_targetILNS1_3genE5ELNS1_11target_archE942ELNS1_3gpuE9ELNS1_3repE0EEENS1_30default_config_static_selectorELNS0_4arch9wavefront6targetE0EEEvT1_.has_dyn_sized_stack, 0
	.set _ZN7rocprim17ROCPRIM_400000_NS6detail17trampoline_kernelINS0_14default_configENS1_20scan_config_selectorIjEEZZNS1_9scan_implILNS1_25lookback_scan_determinismE0ELb1ELb1ES3_PjS8_jN6hipcub16HIPCUB_304000_NS3SumEjEEDaPvRmT3_T4_T5_mT6_P12ihipStream_tbENKUlT_T0_E_clISt17integral_constantIbLb0EESP_EEDaSK_SL_EUlSK_E_NS1_11comp_targetILNS1_3genE5ELNS1_11target_archE942ELNS1_3gpuE9ELNS1_3repE0EEENS1_30default_config_static_selectorELNS0_4arch9wavefront6targetE0EEEvT1_.has_recursion, 0
	.set _ZN7rocprim17ROCPRIM_400000_NS6detail17trampoline_kernelINS0_14default_configENS1_20scan_config_selectorIjEEZZNS1_9scan_implILNS1_25lookback_scan_determinismE0ELb1ELb1ES3_PjS8_jN6hipcub16HIPCUB_304000_NS3SumEjEEDaPvRmT3_T4_T5_mT6_P12ihipStream_tbENKUlT_T0_E_clISt17integral_constantIbLb0EESP_EEDaSK_SL_EUlSK_E_NS1_11comp_targetILNS1_3genE5ELNS1_11target_archE942ELNS1_3gpuE9ELNS1_3repE0EEENS1_30default_config_static_selectorELNS0_4arch9wavefront6targetE0EEEvT1_.has_indirect_call, 0
	.section	.AMDGPU.csdata,"",@progbits
; Kernel info:
; codeLenInByte = 0
; TotalNumSgprs: 0
; NumVgprs: 0
; ScratchSize: 0
; MemoryBound: 0
; FloatMode: 240
; IeeeMode: 1
; LDSByteSize: 0 bytes/workgroup (compile time only)
; SGPRBlocks: 0
; VGPRBlocks: 0
; NumSGPRsForWavesPerEU: 1
; NumVGPRsForWavesPerEU: 1
; NamedBarCnt: 0
; Occupancy: 16
; WaveLimiterHint : 0
; COMPUTE_PGM_RSRC2:SCRATCH_EN: 0
; COMPUTE_PGM_RSRC2:USER_SGPR: 2
; COMPUTE_PGM_RSRC2:TRAP_HANDLER: 0
; COMPUTE_PGM_RSRC2:TGID_X_EN: 1
; COMPUTE_PGM_RSRC2:TGID_Y_EN: 0
; COMPUTE_PGM_RSRC2:TGID_Z_EN: 0
; COMPUTE_PGM_RSRC2:TIDIG_COMP_CNT: 0
	.section	.text._ZN7rocprim17ROCPRIM_400000_NS6detail17trampoline_kernelINS0_14default_configENS1_20scan_config_selectorIjEEZZNS1_9scan_implILNS1_25lookback_scan_determinismE0ELb1ELb1ES3_PjS8_jN6hipcub16HIPCUB_304000_NS3SumEjEEDaPvRmT3_T4_T5_mT6_P12ihipStream_tbENKUlT_T0_E_clISt17integral_constantIbLb0EESP_EEDaSK_SL_EUlSK_E_NS1_11comp_targetILNS1_3genE4ELNS1_11target_archE910ELNS1_3gpuE8ELNS1_3repE0EEENS1_30default_config_static_selectorELNS0_4arch9wavefront6targetE0EEEvT1_,"axG",@progbits,_ZN7rocprim17ROCPRIM_400000_NS6detail17trampoline_kernelINS0_14default_configENS1_20scan_config_selectorIjEEZZNS1_9scan_implILNS1_25lookback_scan_determinismE0ELb1ELb1ES3_PjS8_jN6hipcub16HIPCUB_304000_NS3SumEjEEDaPvRmT3_T4_T5_mT6_P12ihipStream_tbENKUlT_T0_E_clISt17integral_constantIbLb0EESP_EEDaSK_SL_EUlSK_E_NS1_11comp_targetILNS1_3genE4ELNS1_11target_archE910ELNS1_3gpuE8ELNS1_3repE0EEENS1_30default_config_static_selectorELNS0_4arch9wavefront6targetE0EEEvT1_,comdat
	.protected	_ZN7rocprim17ROCPRIM_400000_NS6detail17trampoline_kernelINS0_14default_configENS1_20scan_config_selectorIjEEZZNS1_9scan_implILNS1_25lookback_scan_determinismE0ELb1ELb1ES3_PjS8_jN6hipcub16HIPCUB_304000_NS3SumEjEEDaPvRmT3_T4_T5_mT6_P12ihipStream_tbENKUlT_T0_E_clISt17integral_constantIbLb0EESP_EEDaSK_SL_EUlSK_E_NS1_11comp_targetILNS1_3genE4ELNS1_11target_archE910ELNS1_3gpuE8ELNS1_3repE0EEENS1_30default_config_static_selectorELNS0_4arch9wavefront6targetE0EEEvT1_ ; -- Begin function _ZN7rocprim17ROCPRIM_400000_NS6detail17trampoline_kernelINS0_14default_configENS1_20scan_config_selectorIjEEZZNS1_9scan_implILNS1_25lookback_scan_determinismE0ELb1ELb1ES3_PjS8_jN6hipcub16HIPCUB_304000_NS3SumEjEEDaPvRmT3_T4_T5_mT6_P12ihipStream_tbENKUlT_T0_E_clISt17integral_constantIbLb0EESP_EEDaSK_SL_EUlSK_E_NS1_11comp_targetILNS1_3genE4ELNS1_11target_archE910ELNS1_3gpuE8ELNS1_3repE0EEENS1_30default_config_static_selectorELNS0_4arch9wavefront6targetE0EEEvT1_
	.globl	_ZN7rocprim17ROCPRIM_400000_NS6detail17trampoline_kernelINS0_14default_configENS1_20scan_config_selectorIjEEZZNS1_9scan_implILNS1_25lookback_scan_determinismE0ELb1ELb1ES3_PjS8_jN6hipcub16HIPCUB_304000_NS3SumEjEEDaPvRmT3_T4_T5_mT6_P12ihipStream_tbENKUlT_T0_E_clISt17integral_constantIbLb0EESP_EEDaSK_SL_EUlSK_E_NS1_11comp_targetILNS1_3genE4ELNS1_11target_archE910ELNS1_3gpuE8ELNS1_3repE0EEENS1_30default_config_static_selectorELNS0_4arch9wavefront6targetE0EEEvT1_
	.p2align	8
	.type	_ZN7rocprim17ROCPRIM_400000_NS6detail17trampoline_kernelINS0_14default_configENS1_20scan_config_selectorIjEEZZNS1_9scan_implILNS1_25lookback_scan_determinismE0ELb1ELb1ES3_PjS8_jN6hipcub16HIPCUB_304000_NS3SumEjEEDaPvRmT3_T4_T5_mT6_P12ihipStream_tbENKUlT_T0_E_clISt17integral_constantIbLb0EESP_EEDaSK_SL_EUlSK_E_NS1_11comp_targetILNS1_3genE4ELNS1_11target_archE910ELNS1_3gpuE8ELNS1_3repE0EEENS1_30default_config_static_selectorELNS0_4arch9wavefront6targetE0EEEvT1_,@function
_ZN7rocprim17ROCPRIM_400000_NS6detail17trampoline_kernelINS0_14default_configENS1_20scan_config_selectorIjEEZZNS1_9scan_implILNS1_25lookback_scan_determinismE0ELb1ELb1ES3_PjS8_jN6hipcub16HIPCUB_304000_NS3SumEjEEDaPvRmT3_T4_T5_mT6_P12ihipStream_tbENKUlT_T0_E_clISt17integral_constantIbLb0EESP_EEDaSK_SL_EUlSK_E_NS1_11comp_targetILNS1_3genE4ELNS1_11target_archE910ELNS1_3gpuE8ELNS1_3repE0EEENS1_30default_config_static_selectorELNS0_4arch9wavefront6targetE0EEEvT1_: ; @_ZN7rocprim17ROCPRIM_400000_NS6detail17trampoline_kernelINS0_14default_configENS1_20scan_config_selectorIjEEZZNS1_9scan_implILNS1_25lookback_scan_determinismE0ELb1ELb1ES3_PjS8_jN6hipcub16HIPCUB_304000_NS3SumEjEEDaPvRmT3_T4_T5_mT6_P12ihipStream_tbENKUlT_T0_E_clISt17integral_constantIbLb0EESP_EEDaSK_SL_EUlSK_E_NS1_11comp_targetILNS1_3genE4ELNS1_11target_archE910ELNS1_3gpuE8ELNS1_3repE0EEENS1_30default_config_static_selectorELNS0_4arch9wavefront6targetE0EEEvT1_
; %bb.0:
	.section	.rodata,"a",@progbits
	.p2align	6, 0x0
	.amdhsa_kernel _ZN7rocprim17ROCPRIM_400000_NS6detail17trampoline_kernelINS0_14default_configENS1_20scan_config_selectorIjEEZZNS1_9scan_implILNS1_25lookback_scan_determinismE0ELb1ELb1ES3_PjS8_jN6hipcub16HIPCUB_304000_NS3SumEjEEDaPvRmT3_T4_T5_mT6_P12ihipStream_tbENKUlT_T0_E_clISt17integral_constantIbLb0EESP_EEDaSK_SL_EUlSK_E_NS1_11comp_targetILNS1_3genE4ELNS1_11target_archE910ELNS1_3gpuE8ELNS1_3repE0EEENS1_30default_config_static_selectorELNS0_4arch9wavefront6targetE0EEEvT1_
		.amdhsa_group_segment_fixed_size 0
		.amdhsa_private_segment_fixed_size 0
		.amdhsa_kernarg_size 96
		.amdhsa_user_sgpr_count 2
		.amdhsa_user_sgpr_dispatch_ptr 0
		.amdhsa_user_sgpr_queue_ptr 0
		.amdhsa_user_sgpr_kernarg_segment_ptr 1
		.amdhsa_user_sgpr_dispatch_id 0
		.amdhsa_user_sgpr_kernarg_preload_length 0
		.amdhsa_user_sgpr_kernarg_preload_offset 0
		.amdhsa_user_sgpr_private_segment_size 0
		.amdhsa_wavefront_size32 1
		.amdhsa_uses_dynamic_stack 0
		.amdhsa_enable_private_segment 0
		.amdhsa_system_sgpr_workgroup_id_x 1
		.amdhsa_system_sgpr_workgroup_id_y 0
		.amdhsa_system_sgpr_workgroup_id_z 0
		.amdhsa_system_sgpr_workgroup_info 0
		.amdhsa_system_vgpr_workitem_id 0
		.amdhsa_next_free_vgpr 1
		.amdhsa_next_free_sgpr 1
		.amdhsa_named_barrier_count 0
		.amdhsa_reserve_vcc 0
		.amdhsa_float_round_mode_32 0
		.amdhsa_float_round_mode_16_64 0
		.amdhsa_float_denorm_mode_32 3
		.amdhsa_float_denorm_mode_16_64 3
		.amdhsa_fp16_overflow 0
		.amdhsa_memory_ordered 1
		.amdhsa_forward_progress 1
		.amdhsa_inst_pref_size 0
		.amdhsa_round_robin_scheduling 0
		.amdhsa_exception_fp_ieee_invalid_op 0
		.amdhsa_exception_fp_denorm_src 0
		.amdhsa_exception_fp_ieee_div_zero 0
		.amdhsa_exception_fp_ieee_overflow 0
		.amdhsa_exception_fp_ieee_underflow 0
		.amdhsa_exception_fp_ieee_inexact 0
		.amdhsa_exception_int_div_zero 0
	.end_amdhsa_kernel
	.section	.text._ZN7rocprim17ROCPRIM_400000_NS6detail17trampoline_kernelINS0_14default_configENS1_20scan_config_selectorIjEEZZNS1_9scan_implILNS1_25lookback_scan_determinismE0ELb1ELb1ES3_PjS8_jN6hipcub16HIPCUB_304000_NS3SumEjEEDaPvRmT3_T4_T5_mT6_P12ihipStream_tbENKUlT_T0_E_clISt17integral_constantIbLb0EESP_EEDaSK_SL_EUlSK_E_NS1_11comp_targetILNS1_3genE4ELNS1_11target_archE910ELNS1_3gpuE8ELNS1_3repE0EEENS1_30default_config_static_selectorELNS0_4arch9wavefront6targetE0EEEvT1_,"axG",@progbits,_ZN7rocprim17ROCPRIM_400000_NS6detail17trampoline_kernelINS0_14default_configENS1_20scan_config_selectorIjEEZZNS1_9scan_implILNS1_25lookback_scan_determinismE0ELb1ELb1ES3_PjS8_jN6hipcub16HIPCUB_304000_NS3SumEjEEDaPvRmT3_T4_T5_mT6_P12ihipStream_tbENKUlT_T0_E_clISt17integral_constantIbLb0EESP_EEDaSK_SL_EUlSK_E_NS1_11comp_targetILNS1_3genE4ELNS1_11target_archE910ELNS1_3gpuE8ELNS1_3repE0EEENS1_30default_config_static_selectorELNS0_4arch9wavefront6targetE0EEEvT1_,comdat
.Lfunc_end4:
	.size	_ZN7rocprim17ROCPRIM_400000_NS6detail17trampoline_kernelINS0_14default_configENS1_20scan_config_selectorIjEEZZNS1_9scan_implILNS1_25lookback_scan_determinismE0ELb1ELb1ES3_PjS8_jN6hipcub16HIPCUB_304000_NS3SumEjEEDaPvRmT3_T4_T5_mT6_P12ihipStream_tbENKUlT_T0_E_clISt17integral_constantIbLb0EESP_EEDaSK_SL_EUlSK_E_NS1_11comp_targetILNS1_3genE4ELNS1_11target_archE910ELNS1_3gpuE8ELNS1_3repE0EEENS1_30default_config_static_selectorELNS0_4arch9wavefront6targetE0EEEvT1_, .Lfunc_end4-_ZN7rocprim17ROCPRIM_400000_NS6detail17trampoline_kernelINS0_14default_configENS1_20scan_config_selectorIjEEZZNS1_9scan_implILNS1_25lookback_scan_determinismE0ELb1ELb1ES3_PjS8_jN6hipcub16HIPCUB_304000_NS3SumEjEEDaPvRmT3_T4_T5_mT6_P12ihipStream_tbENKUlT_T0_E_clISt17integral_constantIbLb0EESP_EEDaSK_SL_EUlSK_E_NS1_11comp_targetILNS1_3genE4ELNS1_11target_archE910ELNS1_3gpuE8ELNS1_3repE0EEENS1_30default_config_static_selectorELNS0_4arch9wavefront6targetE0EEEvT1_
                                        ; -- End function
	.set _ZN7rocprim17ROCPRIM_400000_NS6detail17trampoline_kernelINS0_14default_configENS1_20scan_config_selectorIjEEZZNS1_9scan_implILNS1_25lookback_scan_determinismE0ELb1ELb1ES3_PjS8_jN6hipcub16HIPCUB_304000_NS3SumEjEEDaPvRmT3_T4_T5_mT6_P12ihipStream_tbENKUlT_T0_E_clISt17integral_constantIbLb0EESP_EEDaSK_SL_EUlSK_E_NS1_11comp_targetILNS1_3genE4ELNS1_11target_archE910ELNS1_3gpuE8ELNS1_3repE0EEENS1_30default_config_static_selectorELNS0_4arch9wavefront6targetE0EEEvT1_.num_vgpr, 0
	.set _ZN7rocprim17ROCPRIM_400000_NS6detail17trampoline_kernelINS0_14default_configENS1_20scan_config_selectorIjEEZZNS1_9scan_implILNS1_25lookback_scan_determinismE0ELb1ELb1ES3_PjS8_jN6hipcub16HIPCUB_304000_NS3SumEjEEDaPvRmT3_T4_T5_mT6_P12ihipStream_tbENKUlT_T0_E_clISt17integral_constantIbLb0EESP_EEDaSK_SL_EUlSK_E_NS1_11comp_targetILNS1_3genE4ELNS1_11target_archE910ELNS1_3gpuE8ELNS1_3repE0EEENS1_30default_config_static_selectorELNS0_4arch9wavefront6targetE0EEEvT1_.num_agpr, 0
	.set _ZN7rocprim17ROCPRIM_400000_NS6detail17trampoline_kernelINS0_14default_configENS1_20scan_config_selectorIjEEZZNS1_9scan_implILNS1_25lookback_scan_determinismE0ELb1ELb1ES3_PjS8_jN6hipcub16HIPCUB_304000_NS3SumEjEEDaPvRmT3_T4_T5_mT6_P12ihipStream_tbENKUlT_T0_E_clISt17integral_constantIbLb0EESP_EEDaSK_SL_EUlSK_E_NS1_11comp_targetILNS1_3genE4ELNS1_11target_archE910ELNS1_3gpuE8ELNS1_3repE0EEENS1_30default_config_static_selectorELNS0_4arch9wavefront6targetE0EEEvT1_.numbered_sgpr, 0
	.set _ZN7rocprim17ROCPRIM_400000_NS6detail17trampoline_kernelINS0_14default_configENS1_20scan_config_selectorIjEEZZNS1_9scan_implILNS1_25lookback_scan_determinismE0ELb1ELb1ES3_PjS8_jN6hipcub16HIPCUB_304000_NS3SumEjEEDaPvRmT3_T4_T5_mT6_P12ihipStream_tbENKUlT_T0_E_clISt17integral_constantIbLb0EESP_EEDaSK_SL_EUlSK_E_NS1_11comp_targetILNS1_3genE4ELNS1_11target_archE910ELNS1_3gpuE8ELNS1_3repE0EEENS1_30default_config_static_selectorELNS0_4arch9wavefront6targetE0EEEvT1_.num_named_barrier, 0
	.set _ZN7rocprim17ROCPRIM_400000_NS6detail17trampoline_kernelINS0_14default_configENS1_20scan_config_selectorIjEEZZNS1_9scan_implILNS1_25lookback_scan_determinismE0ELb1ELb1ES3_PjS8_jN6hipcub16HIPCUB_304000_NS3SumEjEEDaPvRmT3_T4_T5_mT6_P12ihipStream_tbENKUlT_T0_E_clISt17integral_constantIbLb0EESP_EEDaSK_SL_EUlSK_E_NS1_11comp_targetILNS1_3genE4ELNS1_11target_archE910ELNS1_3gpuE8ELNS1_3repE0EEENS1_30default_config_static_selectorELNS0_4arch9wavefront6targetE0EEEvT1_.private_seg_size, 0
	.set _ZN7rocprim17ROCPRIM_400000_NS6detail17trampoline_kernelINS0_14default_configENS1_20scan_config_selectorIjEEZZNS1_9scan_implILNS1_25lookback_scan_determinismE0ELb1ELb1ES3_PjS8_jN6hipcub16HIPCUB_304000_NS3SumEjEEDaPvRmT3_T4_T5_mT6_P12ihipStream_tbENKUlT_T0_E_clISt17integral_constantIbLb0EESP_EEDaSK_SL_EUlSK_E_NS1_11comp_targetILNS1_3genE4ELNS1_11target_archE910ELNS1_3gpuE8ELNS1_3repE0EEENS1_30default_config_static_selectorELNS0_4arch9wavefront6targetE0EEEvT1_.uses_vcc, 0
	.set _ZN7rocprim17ROCPRIM_400000_NS6detail17trampoline_kernelINS0_14default_configENS1_20scan_config_selectorIjEEZZNS1_9scan_implILNS1_25lookback_scan_determinismE0ELb1ELb1ES3_PjS8_jN6hipcub16HIPCUB_304000_NS3SumEjEEDaPvRmT3_T4_T5_mT6_P12ihipStream_tbENKUlT_T0_E_clISt17integral_constantIbLb0EESP_EEDaSK_SL_EUlSK_E_NS1_11comp_targetILNS1_3genE4ELNS1_11target_archE910ELNS1_3gpuE8ELNS1_3repE0EEENS1_30default_config_static_selectorELNS0_4arch9wavefront6targetE0EEEvT1_.uses_flat_scratch, 0
	.set _ZN7rocprim17ROCPRIM_400000_NS6detail17trampoline_kernelINS0_14default_configENS1_20scan_config_selectorIjEEZZNS1_9scan_implILNS1_25lookback_scan_determinismE0ELb1ELb1ES3_PjS8_jN6hipcub16HIPCUB_304000_NS3SumEjEEDaPvRmT3_T4_T5_mT6_P12ihipStream_tbENKUlT_T0_E_clISt17integral_constantIbLb0EESP_EEDaSK_SL_EUlSK_E_NS1_11comp_targetILNS1_3genE4ELNS1_11target_archE910ELNS1_3gpuE8ELNS1_3repE0EEENS1_30default_config_static_selectorELNS0_4arch9wavefront6targetE0EEEvT1_.has_dyn_sized_stack, 0
	.set _ZN7rocprim17ROCPRIM_400000_NS6detail17trampoline_kernelINS0_14default_configENS1_20scan_config_selectorIjEEZZNS1_9scan_implILNS1_25lookback_scan_determinismE0ELb1ELb1ES3_PjS8_jN6hipcub16HIPCUB_304000_NS3SumEjEEDaPvRmT3_T4_T5_mT6_P12ihipStream_tbENKUlT_T0_E_clISt17integral_constantIbLb0EESP_EEDaSK_SL_EUlSK_E_NS1_11comp_targetILNS1_3genE4ELNS1_11target_archE910ELNS1_3gpuE8ELNS1_3repE0EEENS1_30default_config_static_selectorELNS0_4arch9wavefront6targetE0EEEvT1_.has_recursion, 0
	.set _ZN7rocprim17ROCPRIM_400000_NS6detail17trampoline_kernelINS0_14default_configENS1_20scan_config_selectorIjEEZZNS1_9scan_implILNS1_25lookback_scan_determinismE0ELb1ELb1ES3_PjS8_jN6hipcub16HIPCUB_304000_NS3SumEjEEDaPvRmT3_T4_T5_mT6_P12ihipStream_tbENKUlT_T0_E_clISt17integral_constantIbLb0EESP_EEDaSK_SL_EUlSK_E_NS1_11comp_targetILNS1_3genE4ELNS1_11target_archE910ELNS1_3gpuE8ELNS1_3repE0EEENS1_30default_config_static_selectorELNS0_4arch9wavefront6targetE0EEEvT1_.has_indirect_call, 0
	.section	.AMDGPU.csdata,"",@progbits
; Kernel info:
; codeLenInByte = 0
; TotalNumSgprs: 0
; NumVgprs: 0
; ScratchSize: 0
; MemoryBound: 0
; FloatMode: 240
; IeeeMode: 1
; LDSByteSize: 0 bytes/workgroup (compile time only)
; SGPRBlocks: 0
; VGPRBlocks: 0
; NumSGPRsForWavesPerEU: 1
; NumVGPRsForWavesPerEU: 1
; NamedBarCnt: 0
; Occupancy: 16
; WaveLimiterHint : 0
; COMPUTE_PGM_RSRC2:SCRATCH_EN: 0
; COMPUTE_PGM_RSRC2:USER_SGPR: 2
; COMPUTE_PGM_RSRC2:TRAP_HANDLER: 0
; COMPUTE_PGM_RSRC2:TGID_X_EN: 1
; COMPUTE_PGM_RSRC2:TGID_Y_EN: 0
; COMPUTE_PGM_RSRC2:TGID_Z_EN: 0
; COMPUTE_PGM_RSRC2:TIDIG_COMP_CNT: 0
	.section	.text._ZN7rocprim17ROCPRIM_400000_NS6detail17trampoline_kernelINS0_14default_configENS1_20scan_config_selectorIjEEZZNS1_9scan_implILNS1_25lookback_scan_determinismE0ELb1ELb1ES3_PjS8_jN6hipcub16HIPCUB_304000_NS3SumEjEEDaPvRmT3_T4_T5_mT6_P12ihipStream_tbENKUlT_T0_E_clISt17integral_constantIbLb0EESP_EEDaSK_SL_EUlSK_E_NS1_11comp_targetILNS1_3genE3ELNS1_11target_archE908ELNS1_3gpuE7ELNS1_3repE0EEENS1_30default_config_static_selectorELNS0_4arch9wavefront6targetE0EEEvT1_,"axG",@progbits,_ZN7rocprim17ROCPRIM_400000_NS6detail17trampoline_kernelINS0_14default_configENS1_20scan_config_selectorIjEEZZNS1_9scan_implILNS1_25lookback_scan_determinismE0ELb1ELb1ES3_PjS8_jN6hipcub16HIPCUB_304000_NS3SumEjEEDaPvRmT3_T4_T5_mT6_P12ihipStream_tbENKUlT_T0_E_clISt17integral_constantIbLb0EESP_EEDaSK_SL_EUlSK_E_NS1_11comp_targetILNS1_3genE3ELNS1_11target_archE908ELNS1_3gpuE7ELNS1_3repE0EEENS1_30default_config_static_selectorELNS0_4arch9wavefront6targetE0EEEvT1_,comdat
	.protected	_ZN7rocprim17ROCPRIM_400000_NS6detail17trampoline_kernelINS0_14default_configENS1_20scan_config_selectorIjEEZZNS1_9scan_implILNS1_25lookback_scan_determinismE0ELb1ELb1ES3_PjS8_jN6hipcub16HIPCUB_304000_NS3SumEjEEDaPvRmT3_T4_T5_mT6_P12ihipStream_tbENKUlT_T0_E_clISt17integral_constantIbLb0EESP_EEDaSK_SL_EUlSK_E_NS1_11comp_targetILNS1_3genE3ELNS1_11target_archE908ELNS1_3gpuE7ELNS1_3repE0EEENS1_30default_config_static_selectorELNS0_4arch9wavefront6targetE0EEEvT1_ ; -- Begin function _ZN7rocprim17ROCPRIM_400000_NS6detail17trampoline_kernelINS0_14default_configENS1_20scan_config_selectorIjEEZZNS1_9scan_implILNS1_25lookback_scan_determinismE0ELb1ELb1ES3_PjS8_jN6hipcub16HIPCUB_304000_NS3SumEjEEDaPvRmT3_T4_T5_mT6_P12ihipStream_tbENKUlT_T0_E_clISt17integral_constantIbLb0EESP_EEDaSK_SL_EUlSK_E_NS1_11comp_targetILNS1_3genE3ELNS1_11target_archE908ELNS1_3gpuE7ELNS1_3repE0EEENS1_30default_config_static_selectorELNS0_4arch9wavefront6targetE0EEEvT1_
	.globl	_ZN7rocprim17ROCPRIM_400000_NS6detail17trampoline_kernelINS0_14default_configENS1_20scan_config_selectorIjEEZZNS1_9scan_implILNS1_25lookback_scan_determinismE0ELb1ELb1ES3_PjS8_jN6hipcub16HIPCUB_304000_NS3SumEjEEDaPvRmT3_T4_T5_mT6_P12ihipStream_tbENKUlT_T0_E_clISt17integral_constantIbLb0EESP_EEDaSK_SL_EUlSK_E_NS1_11comp_targetILNS1_3genE3ELNS1_11target_archE908ELNS1_3gpuE7ELNS1_3repE0EEENS1_30default_config_static_selectorELNS0_4arch9wavefront6targetE0EEEvT1_
	.p2align	8
	.type	_ZN7rocprim17ROCPRIM_400000_NS6detail17trampoline_kernelINS0_14default_configENS1_20scan_config_selectorIjEEZZNS1_9scan_implILNS1_25lookback_scan_determinismE0ELb1ELb1ES3_PjS8_jN6hipcub16HIPCUB_304000_NS3SumEjEEDaPvRmT3_T4_T5_mT6_P12ihipStream_tbENKUlT_T0_E_clISt17integral_constantIbLb0EESP_EEDaSK_SL_EUlSK_E_NS1_11comp_targetILNS1_3genE3ELNS1_11target_archE908ELNS1_3gpuE7ELNS1_3repE0EEENS1_30default_config_static_selectorELNS0_4arch9wavefront6targetE0EEEvT1_,@function
_ZN7rocprim17ROCPRIM_400000_NS6detail17trampoline_kernelINS0_14default_configENS1_20scan_config_selectorIjEEZZNS1_9scan_implILNS1_25lookback_scan_determinismE0ELb1ELb1ES3_PjS8_jN6hipcub16HIPCUB_304000_NS3SumEjEEDaPvRmT3_T4_T5_mT6_P12ihipStream_tbENKUlT_T0_E_clISt17integral_constantIbLb0EESP_EEDaSK_SL_EUlSK_E_NS1_11comp_targetILNS1_3genE3ELNS1_11target_archE908ELNS1_3gpuE7ELNS1_3repE0EEENS1_30default_config_static_selectorELNS0_4arch9wavefront6targetE0EEEvT1_: ; @_ZN7rocprim17ROCPRIM_400000_NS6detail17trampoline_kernelINS0_14default_configENS1_20scan_config_selectorIjEEZZNS1_9scan_implILNS1_25lookback_scan_determinismE0ELb1ELb1ES3_PjS8_jN6hipcub16HIPCUB_304000_NS3SumEjEEDaPvRmT3_T4_T5_mT6_P12ihipStream_tbENKUlT_T0_E_clISt17integral_constantIbLb0EESP_EEDaSK_SL_EUlSK_E_NS1_11comp_targetILNS1_3genE3ELNS1_11target_archE908ELNS1_3gpuE7ELNS1_3repE0EEENS1_30default_config_static_selectorELNS0_4arch9wavefront6targetE0EEEvT1_
; %bb.0:
	.section	.rodata,"a",@progbits
	.p2align	6, 0x0
	.amdhsa_kernel _ZN7rocprim17ROCPRIM_400000_NS6detail17trampoline_kernelINS0_14default_configENS1_20scan_config_selectorIjEEZZNS1_9scan_implILNS1_25lookback_scan_determinismE0ELb1ELb1ES3_PjS8_jN6hipcub16HIPCUB_304000_NS3SumEjEEDaPvRmT3_T4_T5_mT6_P12ihipStream_tbENKUlT_T0_E_clISt17integral_constantIbLb0EESP_EEDaSK_SL_EUlSK_E_NS1_11comp_targetILNS1_3genE3ELNS1_11target_archE908ELNS1_3gpuE7ELNS1_3repE0EEENS1_30default_config_static_selectorELNS0_4arch9wavefront6targetE0EEEvT1_
		.amdhsa_group_segment_fixed_size 0
		.amdhsa_private_segment_fixed_size 0
		.amdhsa_kernarg_size 96
		.amdhsa_user_sgpr_count 2
		.amdhsa_user_sgpr_dispatch_ptr 0
		.amdhsa_user_sgpr_queue_ptr 0
		.amdhsa_user_sgpr_kernarg_segment_ptr 1
		.amdhsa_user_sgpr_dispatch_id 0
		.amdhsa_user_sgpr_kernarg_preload_length 0
		.amdhsa_user_sgpr_kernarg_preload_offset 0
		.amdhsa_user_sgpr_private_segment_size 0
		.amdhsa_wavefront_size32 1
		.amdhsa_uses_dynamic_stack 0
		.amdhsa_enable_private_segment 0
		.amdhsa_system_sgpr_workgroup_id_x 1
		.amdhsa_system_sgpr_workgroup_id_y 0
		.amdhsa_system_sgpr_workgroup_id_z 0
		.amdhsa_system_sgpr_workgroup_info 0
		.amdhsa_system_vgpr_workitem_id 0
		.amdhsa_next_free_vgpr 1
		.amdhsa_next_free_sgpr 1
		.amdhsa_named_barrier_count 0
		.amdhsa_reserve_vcc 0
		.amdhsa_float_round_mode_32 0
		.amdhsa_float_round_mode_16_64 0
		.amdhsa_float_denorm_mode_32 3
		.amdhsa_float_denorm_mode_16_64 3
		.amdhsa_fp16_overflow 0
		.amdhsa_memory_ordered 1
		.amdhsa_forward_progress 1
		.amdhsa_inst_pref_size 0
		.amdhsa_round_robin_scheduling 0
		.amdhsa_exception_fp_ieee_invalid_op 0
		.amdhsa_exception_fp_denorm_src 0
		.amdhsa_exception_fp_ieee_div_zero 0
		.amdhsa_exception_fp_ieee_overflow 0
		.amdhsa_exception_fp_ieee_underflow 0
		.amdhsa_exception_fp_ieee_inexact 0
		.amdhsa_exception_int_div_zero 0
	.end_amdhsa_kernel
	.section	.text._ZN7rocprim17ROCPRIM_400000_NS6detail17trampoline_kernelINS0_14default_configENS1_20scan_config_selectorIjEEZZNS1_9scan_implILNS1_25lookback_scan_determinismE0ELb1ELb1ES3_PjS8_jN6hipcub16HIPCUB_304000_NS3SumEjEEDaPvRmT3_T4_T5_mT6_P12ihipStream_tbENKUlT_T0_E_clISt17integral_constantIbLb0EESP_EEDaSK_SL_EUlSK_E_NS1_11comp_targetILNS1_3genE3ELNS1_11target_archE908ELNS1_3gpuE7ELNS1_3repE0EEENS1_30default_config_static_selectorELNS0_4arch9wavefront6targetE0EEEvT1_,"axG",@progbits,_ZN7rocprim17ROCPRIM_400000_NS6detail17trampoline_kernelINS0_14default_configENS1_20scan_config_selectorIjEEZZNS1_9scan_implILNS1_25lookback_scan_determinismE0ELb1ELb1ES3_PjS8_jN6hipcub16HIPCUB_304000_NS3SumEjEEDaPvRmT3_T4_T5_mT6_P12ihipStream_tbENKUlT_T0_E_clISt17integral_constantIbLb0EESP_EEDaSK_SL_EUlSK_E_NS1_11comp_targetILNS1_3genE3ELNS1_11target_archE908ELNS1_3gpuE7ELNS1_3repE0EEENS1_30default_config_static_selectorELNS0_4arch9wavefront6targetE0EEEvT1_,comdat
.Lfunc_end5:
	.size	_ZN7rocprim17ROCPRIM_400000_NS6detail17trampoline_kernelINS0_14default_configENS1_20scan_config_selectorIjEEZZNS1_9scan_implILNS1_25lookback_scan_determinismE0ELb1ELb1ES3_PjS8_jN6hipcub16HIPCUB_304000_NS3SumEjEEDaPvRmT3_T4_T5_mT6_P12ihipStream_tbENKUlT_T0_E_clISt17integral_constantIbLb0EESP_EEDaSK_SL_EUlSK_E_NS1_11comp_targetILNS1_3genE3ELNS1_11target_archE908ELNS1_3gpuE7ELNS1_3repE0EEENS1_30default_config_static_selectorELNS0_4arch9wavefront6targetE0EEEvT1_, .Lfunc_end5-_ZN7rocprim17ROCPRIM_400000_NS6detail17trampoline_kernelINS0_14default_configENS1_20scan_config_selectorIjEEZZNS1_9scan_implILNS1_25lookback_scan_determinismE0ELb1ELb1ES3_PjS8_jN6hipcub16HIPCUB_304000_NS3SumEjEEDaPvRmT3_T4_T5_mT6_P12ihipStream_tbENKUlT_T0_E_clISt17integral_constantIbLb0EESP_EEDaSK_SL_EUlSK_E_NS1_11comp_targetILNS1_3genE3ELNS1_11target_archE908ELNS1_3gpuE7ELNS1_3repE0EEENS1_30default_config_static_selectorELNS0_4arch9wavefront6targetE0EEEvT1_
                                        ; -- End function
	.set _ZN7rocprim17ROCPRIM_400000_NS6detail17trampoline_kernelINS0_14default_configENS1_20scan_config_selectorIjEEZZNS1_9scan_implILNS1_25lookback_scan_determinismE0ELb1ELb1ES3_PjS8_jN6hipcub16HIPCUB_304000_NS3SumEjEEDaPvRmT3_T4_T5_mT6_P12ihipStream_tbENKUlT_T0_E_clISt17integral_constantIbLb0EESP_EEDaSK_SL_EUlSK_E_NS1_11comp_targetILNS1_3genE3ELNS1_11target_archE908ELNS1_3gpuE7ELNS1_3repE0EEENS1_30default_config_static_selectorELNS0_4arch9wavefront6targetE0EEEvT1_.num_vgpr, 0
	.set _ZN7rocprim17ROCPRIM_400000_NS6detail17trampoline_kernelINS0_14default_configENS1_20scan_config_selectorIjEEZZNS1_9scan_implILNS1_25lookback_scan_determinismE0ELb1ELb1ES3_PjS8_jN6hipcub16HIPCUB_304000_NS3SumEjEEDaPvRmT3_T4_T5_mT6_P12ihipStream_tbENKUlT_T0_E_clISt17integral_constantIbLb0EESP_EEDaSK_SL_EUlSK_E_NS1_11comp_targetILNS1_3genE3ELNS1_11target_archE908ELNS1_3gpuE7ELNS1_3repE0EEENS1_30default_config_static_selectorELNS0_4arch9wavefront6targetE0EEEvT1_.num_agpr, 0
	.set _ZN7rocprim17ROCPRIM_400000_NS6detail17trampoline_kernelINS0_14default_configENS1_20scan_config_selectorIjEEZZNS1_9scan_implILNS1_25lookback_scan_determinismE0ELb1ELb1ES3_PjS8_jN6hipcub16HIPCUB_304000_NS3SumEjEEDaPvRmT3_T4_T5_mT6_P12ihipStream_tbENKUlT_T0_E_clISt17integral_constantIbLb0EESP_EEDaSK_SL_EUlSK_E_NS1_11comp_targetILNS1_3genE3ELNS1_11target_archE908ELNS1_3gpuE7ELNS1_3repE0EEENS1_30default_config_static_selectorELNS0_4arch9wavefront6targetE0EEEvT1_.numbered_sgpr, 0
	.set _ZN7rocprim17ROCPRIM_400000_NS6detail17trampoline_kernelINS0_14default_configENS1_20scan_config_selectorIjEEZZNS1_9scan_implILNS1_25lookback_scan_determinismE0ELb1ELb1ES3_PjS8_jN6hipcub16HIPCUB_304000_NS3SumEjEEDaPvRmT3_T4_T5_mT6_P12ihipStream_tbENKUlT_T0_E_clISt17integral_constantIbLb0EESP_EEDaSK_SL_EUlSK_E_NS1_11comp_targetILNS1_3genE3ELNS1_11target_archE908ELNS1_3gpuE7ELNS1_3repE0EEENS1_30default_config_static_selectorELNS0_4arch9wavefront6targetE0EEEvT1_.num_named_barrier, 0
	.set _ZN7rocprim17ROCPRIM_400000_NS6detail17trampoline_kernelINS0_14default_configENS1_20scan_config_selectorIjEEZZNS1_9scan_implILNS1_25lookback_scan_determinismE0ELb1ELb1ES3_PjS8_jN6hipcub16HIPCUB_304000_NS3SumEjEEDaPvRmT3_T4_T5_mT6_P12ihipStream_tbENKUlT_T0_E_clISt17integral_constantIbLb0EESP_EEDaSK_SL_EUlSK_E_NS1_11comp_targetILNS1_3genE3ELNS1_11target_archE908ELNS1_3gpuE7ELNS1_3repE0EEENS1_30default_config_static_selectorELNS0_4arch9wavefront6targetE0EEEvT1_.private_seg_size, 0
	.set _ZN7rocprim17ROCPRIM_400000_NS6detail17trampoline_kernelINS0_14default_configENS1_20scan_config_selectorIjEEZZNS1_9scan_implILNS1_25lookback_scan_determinismE0ELb1ELb1ES3_PjS8_jN6hipcub16HIPCUB_304000_NS3SumEjEEDaPvRmT3_T4_T5_mT6_P12ihipStream_tbENKUlT_T0_E_clISt17integral_constantIbLb0EESP_EEDaSK_SL_EUlSK_E_NS1_11comp_targetILNS1_3genE3ELNS1_11target_archE908ELNS1_3gpuE7ELNS1_3repE0EEENS1_30default_config_static_selectorELNS0_4arch9wavefront6targetE0EEEvT1_.uses_vcc, 0
	.set _ZN7rocprim17ROCPRIM_400000_NS6detail17trampoline_kernelINS0_14default_configENS1_20scan_config_selectorIjEEZZNS1_9scan_implILNS1_25lookback_scan_determinismE0ELb1ELb1ES3_PjS8_jN6hipcub16HIPCUB_304000_NS3SumEjEEDaPvRmT3_T4_T5_mT6_P12ihipStream_tbENKUlT_T0_E_clISt17integral_constantIbLb0EESP_EEDaSK_SL_EUlSK_E_NS1_11comp_targetILNS1_3genE3ELNS1_11target_archE908ELNS1_3gpuE7ELNS1_3repE0EEENS1_30default_config_static_selectorELNS0_4arch9wavefront6targetE0EEEvT1_.uses_flat_scratch, 0
	.set _ZN7rocprim17ROCPRIM_400000_NS6detail17trampoline_kernelINS0_14default_configENS1_20scan_config_selectorIjEEZZNS1_9scan_implILNS1_25lookback_scan_determinismE0ELb1ELb1ES3_PjS8_jN6hipcub16HIPCUB_304000_NS3SumEjEEDaPvRmT3_T4_T5_mT6_P12ihipStream_tbENKUlT_T0_E_clISt17integral_constantIbLb0EESP_EEDaSK_SL_EUlSK_E_NS1_11comp_targetILNS1_3genE3ELNS1_11target_archE908ELNS1_3gpuE7ELNS1_3repE0EEENS1_30default_config_static_selectorELNS0_4arch9wavefront6targetE0EEEvT1_.has_dyn_sized_stack, 0
	.set _ZN7rocprim17ROCPRIM_400000_NS6detail17trampoline_kernelINS0_14default_configENS1_20scan_config_selectorIjEEZZNS1_9scan_implILNS1_25lookback_scan_determinismE0ELb1ELb1ES3_PjS8_jN6hipcub16HIPCUB_304000_NS3SumEjEEDaPvRmT3_T4_T5_mT6_P12ihipStream_tbENKUlT_T0_E_clISt17integral_constantIbLb0EESP_EEDaSK_SL_EUlSK_E_NS1_11comp_targetILNS1_3genE3ELNS1_11target_archE908ELNS1_3gpuE7ELNS1_3repE0EEENS1_30default_config_static_selectorELNS0_4arch9wavefront6targetE0EEEvT1_.has_recursion, 0
	.set _ZN7rocprim17ROCPRIM_400000_NS6detail17trampoline_kernelINS0_14default_configENS1_20scan_config_selectorIjEEZZNS1_9scan_implILNS1_25lookback_scan_determinismE0ELb1ELb1ES3_PjS8_jN6hipcub16HIPCUB_304000_NS3SumEjEEDaPvRmT3_T4_T5_mT6_P12ihipStream_tbENKUlT_T0_E_clISt17integral_constantIbLb0EESP_EEDaSK_SL_EUlSK_E_NS1_11comp_targetILNS1_3genE3ELNS1_11target_archE908ELNS1_3gpuE7ELNS1_3repE0EEENS1_30default_config_static_selectorELNS0_4arch9wavefront6targetE0EEEvT1_.has_indirect_call, 0
	.section	.AMDGPU.csdata,"",@progbits
; Kernel info:
; codeLenInByte = 0
; TotalNumSgprs: 0
; NumVgprs: 0
; ScratchSize: 0
; MemoryBound: 0
; FloatMode: 240
; IeeeMode: 1
; LDSByteSize: 0 bytes/workgroup (compile time only)
; SGPRBlocks: 0
; VGPRBlocks: 0
; NumSGPRsForWavesPerEU: 1
; NumVGPRsForWavesPerEU: 1
; NamedBarCnt: 0
; Occupancy: 16
; WaveLimiterHint : 0
; COMPUTE_PGM_RSRC2:SCRATCH_EN: 0
; COMPUTE_PGM_RSRC2:USER_SGPR: 2
; COMPUTE_PGM_RSRC2:TRAP_HANDLER: 0
; COMPUTE_PGM_RSRC2:TGID_X_EN: 1
; COMPUTE_PGM_RSRC2:TGID_Y_EN: 0
; COMPUTE_PGM_RSRC2:TGID_Z_EN: 0
; COMPUTE_PGM_RSRC2:TIDIG_COMP_CNT: 0
	.section	.text._ZN7rocprim17ROCPRIM_400000_NS6detail17trampoline_kernelINS0_14default_configENS1_20scan_config_selectorIjEEZZNS1_9scan_implILNS1_25lookback_scan_determinismE0ELb1ELb1ES3_PjS8_jN6hipcub16HIPCUB_304000_NS3SumEjEEDaPvRmT3_T4_T5_mT6_P12ihipStream_tbENKUlT_T0_E_clISt17integral_constantIbLb0EESP_EEDaSK_SL_EUlSK_E_NS1_11comp_targetILNS1_3genE2ELNS1_11target_archE906ELNS1_3gpuE6ELNS1_3repE0EEENS1_30default_config_static_selectorELNS0_4arch9wavefront6targetE0EEEvT1_,"axG",@progbits,_ZN7rocprim17ROCPRIM_400000_NS6detail17trampoline_kernelINS0_14default_configENS1_20scan_config_selectorIjEEZZNS1_9scan_implILNS1_25lookback_scan_determinismE0ELb1ELb1ES3_PjS8_jN6hipcub16HIPCUB_304000_NS3SumEjEEDaPvRmT3_T4_T5_mT6_P12ihipStream_tbENKUlT_T0_E_clISt17integral_constantIbLb0EESP_EEDaSK_SL_EUlSK_E_NS1_11comp_targetILNS1_3genE2ELNS1_11target_archE906ELNS1_3gpuE6ELNS1_3repE0EEENS1_30default_config_static_selectorELNS0_4arch9wavefront6targetE0EEEvT1_,comdat
	.protected	_ZN7rocprim17ROCPRIM_400000_NS6detail17trampoline_kernelINS0_14default_configENS1_20scan_config_selectorIjEEZZNS1_9scan_implILNS1_25lookback_scan_determinismE0ELb1ELb1ES3_PjS8_jN6hipcub16HIPCUB_304000_NS3SumEjEEDaPvRmT3_T4_T5_mT6_P12ihipStream_tbENKUlT_T0_E_clISt17integral_constantIbLb0EESP_EEDaSK_SL_EUlSK_E_NS1_11comp_targetILNS1_3genE2ELNS1_11target_archE906ELNS1_3gpuE6ELNS1_3repE0EEENS1_30default_config_static_selectorELNS0_4arch9wavefront6targetE0EEEvT1_ ; -- Begin function _ZN7rocprim17ROCPRIM_400000_NS6detail17trampoline_kernelINS0_14default_configENS1_20scan_config_selectorIjEEZZNS1_9scan_implILNS1_25lookback_scan_determinismE0ELb1ELb1ES3_PjS8_jN6hipcub16HIPCUB_304000_NS3SumEjEEDaPvRmT3_T4_T5_mT6_P12ihipStream_tbENKUlT_T0_E_clISt17integral_constantIbLb0EESP_EEDaSK_SL_EUlSK_E_NS1_11comp_targetILNS1_3genE2ELNS1_11target_archE906ELNS1_3gpuE6ELNS1_3repE0EEENS1_30default_config_static_selectorELNS0_4arch9wavefront6targetE0EEEvT1_
	.globl	_ZN7rocprim17ROCPRIM_400000_NS6detail17trampoline_kernelINS0_14default_configENS1_20scan_config_selectorIjEEZZNS1_9scan_implILNS1_25lookback_scan_determinismE0ELb1ELb1ES3_PjS8_jN6hipcub16HIPCUB_304000_NS3SumEjEEDaPvRmT3_T4_T5_mT6_P12ihipStream_tbENKUlT_T0_E_clISt17integral_constantIbLb0EESP_EEDaSK_SL_EUlSK_E_NS1_11comp_targetILNS1_3genE2ELNS1_11target_archE906ELNS1_3gpuE6ELNS1_3repE0EEENS1_30default_config_static_selectorELNS0_4arch9wavefront6targetE0EEEvT1_
	.p2align	8
	.type	_ZN7rocprim17ROCPRIM_400000_NS6detail17trampoline_kernelINS0_14default_configENS1_20scan_config_selectorIjEEZZNS1_9scan_implILNS1_25lookback_scan_determinismE0ELb1ELb1ES3_PjS8_jN6hipcub16HIPCUB_304000_NS3SumEjEEDaPvRmT3_T4_T5_mT6_P12ihipStream_tbENKUlT_T0_E_clISt17integral_constantIbLb0EESP_EEDaSK_SL_EUlSK_E_NS1_11comp_targetILNS1_3genE2ELNS1_11target_archE906ELNS1_3gpuE6ELNS1_3repE0EEENS1_30default_config_static_selectorELNS0_4arch9wavefront6targetE0EEEvT1_,@function
_ZN7rocprim17ROCPRIM_400000_NS6detail17trampoline_kernelINS0_14default_configENS1_20scan_config_selectorIjEEZZNS1_9scan_implILNS1_25lookback_scan_determinismE0ELb1ELb1ES3_PjS8_jN6hipcub16HIPCUB_304000_NS3SumEjEEDaPvRmT3_T4_T5_mT6_P12ihipStream_tbENKUlT_T0_E_clISt17integral_constantIbLb0EESP_EEDaSK_SL_EUlSK_E_NS1_11comp_targetILNS1_3genE2ELNS1_11target_archE906ELNS1_3gpuE6ELNS1_3repE0EEENS1_30default_config_static_selectorELNS0_4arch9wavefront6targetE0EEEvT1_: ; @_ZN7rocprim17ROCPRIM_400000_NS6detail17trampoline_kernelINS0_14default_configENS1_20scan_config_selectorIjEEZZNS1_9scan_implILNS1_25lookback_scan_determinismE0ELb1ELb1ES3_PjS8_jN6hipcub16HIPCUB_304000_NS3SumEjEEDaPvRmT3_T4_T5_mT6_P12ihipStream_tbENKUlT_T0_E_clISt17integral_constantIbLb0EESP_EEDaSK_SL_EUlSK_E_NS1_11comp_targetILNS1_3genE2ELNS1_11target_archE906ELNS1_3gpuE6ELNS1_3repE0EEENS1_30default_config_static_selectorELNS0_4arch9wavefront6targetE0EEEvT1_
; %bb.0:
	.section	.rodata,"a",@progbits
	.p2align	6, 0x0
	.amdhsa_kernel _ZN7rocprim17ROCPRIM_400000_NS6detail17trampoline_kernelINS0_14default_configENS1_20scan_config_selectorIjEEZZNS1_9scan_implILNS1_25lookback_scan_determinismE0ELb1ELb1ES3_PjS8_jN6hipcub16HIPCUB_304000_NS3SumEjEEDaPvRmT3_T4_T5_mT6_P12ihipStream_tbENKUlT_T0_E_clISt17integral_constantIbLb0EESP_EEDaSK_SL_EUlSK_E_NS1_11comp_targetILNS1_3genE2ELNS1_11target_archE906ELNS1_3gpuE6ELNS1_3repE0EEENS1_30default_config_static_selectorELNS0_4arch9wavefront6targetE0EEEvT1_
		.amdhsa_group_segment_fixed_size 0
		.amdhsa_private_segment_fixed_size 0
		.amdhsa_kernarg_size 96
		.amdhsa_user_sgpr_count 2
		.amdhsa_user_sgpr_dispatch_ptr 0
		.amdhsa_user_sgpr_queue_ptr 0
		.amdhsa_user_sgpr_kernarg_segment_ptr 1
		.amdhsa_user_sgpr_dispatch_id 0
		.amdhsa_user_sgpr_kernarg_preload_length 0
		.amdhsa_user_sgpr_kernarg_preload_offset 0
		.amdhsa_user_sgpr_private_segment_size 0
		.amdhsa_wavefront_size32 1
		.amdhsa_uses_dynamic_stack 0
		.amdhsa_enable_private_segment 0
		.amdhsa_system_sgpr_workgroup_id_x 1
		.amdhsa_system_sgpr_workgroup_id_y 0
		.amdhsa_system_sgpr_workgroup_id_z 0
		.amdhsa_system_sgpr_workgroup_info 0
		.amdhsa_system_vgpr_workitem_id 0
		.amdhsa_next_free_vgpr 1
		.amdhsa_next_free_sgpr 1
		.amdhsa_named_barrier_count 0
		.amdhsa_reserve_vcc 0
		.amdhsa_float_round_mode_32 0
		.amdhsa_float_round_mode_16_64 0
		.amdhsa_float_denorm_mode_32 3
		.amdhsa_float_denorm_mode_16_64 3
		.amdhsa_fp16_overflow 0
		.amdhsa_memory_ordered 1
		.amdhsa_forward_progress 1
		.amdhsa_inst_pref_size 0
		.amdhsa_round_robin_scheduling 0
		.amdhsa_exception_fp_ieee_invalid_op 0
		.amdhsa_exception_fp_denorm_src 0
		.amdhsa_exception_fp_ieee_div_zero 0
		.amdhsa_exception_fp_ieee_overflow 0
		.amdhsa_exception_fp_ieee_underflow 0
		.amdhsa_exception_fp_ieee_inexact 0
		.amdhsa_exception_int_div_zero 0
	.end_amdhsa_kernel
	.section	.text._ZN7rocprim17ROCPRIM_400000_NS6detail17trampoline_kernelINS0_14default_configENS1_20scan_config_selectorIjEEZZNS1_9scan_implILNS1_25lookback_scan_determinismE0ELb1ELb1ES3_PjS8_jN6hipcub16HIPCUB_304000_NS3SumEjEEDaPvRmT3_T4_T5_mT6_P12ihipStream_tbENKUlT_T0_E_clISt17integral_constantIbLb0EESP_EEDaSK_SL_EUlSK_E_NS1_11comp_targetILNS1_3genE2ELNS1_11target_archE906ELNS1_3gpuE6ELNS1_3repE0EEENS1_30default_config_static_selectorELNS0_4arch9wavefront6targetE0EEEvT1_,"axG",@progbits,_ZN7rocprim17ROCPRIM_400000_NS6detail17trampoline_kernelINS0_14default_configENS1_20scan_config_selectorIjEEZZNS1_9scan_implILNS1_25lookback_scan_determinismE0ELb1ELb1ES3_PjS8_jN6hipcub16HIPCUB_304000_NS3SumEjEEDaPvRmT3_T4_T5_mT6_P12ihipStream_tbENKUlT_T0_E_clISt17integral_constantIbLb0EESP_EEDaSK_SL_EUlSK_E_NS1_11comp_targetILNS1_3genE2ELNS1_11target_archE906ELNS1_3gpuE6ELNS1_3repE0EEENS1_30default_config_static_selectorELNS0_4arch9wavefront6targetE0EEEvT1_,comdat
.Lfunc_end6:
	.size	_ZN7rocprim17ROCPRIM_400000_NS6detail17trampoline_kernelINS0_14default_configENS1_20scan_config_selectorIjEEZZNS1_9scan_implILNS1_25lookback_scan_determinismE0ELb1ELb1ES3_PjS8_jN6hipcub16HIPCUB_304000_NS3SumEjEEDaPvRmT3_T4_T5_mT6_P12ihipStream_tbENKUlT_T0_E_clISt17integral_constantIbLb0EESP_EEDaSK_SL_EUlSK_E_NS1_11comp_targetILNS1_3genE2ELNS1_11target_archE906ELNS1_3gpuE6ELNS1_3repE0EEENS1_30default_config_static_selectorELNS0_4arch9wavefront6targetE0EEEvT1_, .Lfunc_end6-_ZN7rocprim17ROCPRIM_400000_NS6detail17trampoline_kernelINS0_14default_configENS1_20scan_config_selectorIjEEZZNS1_9scan_implILNS1_25lookback_scan_determinismE0ELb1ELb1ES3_PjS8_jN6hipcub16HIPCUB_304000_NS3SumEjEEDaPvRmT3_T4_T5_mT6_P12ihipStream_tbENKUlT_T0_E_clISt17integral_constantIbLb0EESP_EEDaSK_SL_EUlSK_E_NS1_11comp_targetILNS1_3genE2ELNS1_11target_archE906ELNS1_3gpuE6ELNS1_3repE0EEENS1_30default_config_static_selectorELNS0_4arch9wavefront6targetE0EEEvT1_
                                        ; -- End function
	.set _ZN7rocprim17ROCPRIM_400000_NS6detail17trampoline_kernelINS0_14default_configENS1_20scan_config_selectorIjEEZZNS1_9scan_implILNS1_25lookback_scan_determinismE0ELb1ELb1ES3_PjS8_jN6hipcub16HIPCUB_304000_NS3SumEjEEDaPvRmT3_T4_T5_mT6_P12ihipStream_tbENKUlT_T0_E_clISt17integral_constantIbLb0EESP_EEDaSK_SL_EUlSK_E_NS1_11comp_targetILNS1_3genE2ELNS1_11target_archE906ELNS1_3gpuE6ELNS1_3repE0EEENS1_30default_config_static_selectorELNS0_4arch9wavefront6targetE0EEEvT1_.num_vgpr, 0
	.set _ZN7rocprim17ROCPRIM_400000_NS6detail17trampoline_kernelINS0_14default_configENS1_20scan_config_selectorIjEEZZNS1_9scan_implILNS1_25lookback_scan_determinismE0ELb1ELb1ES3_PjS8_jN6hipcub16HIPCUB_304000_NS3SumEjEEDaPvRmT3_T4_T5_mT6_P12ihipStream_tbENKUlT_T0_E_clISt17integral_constantIbLb0EESP_EEDaSK_SL_EUlSK_E_NS1_11comp_targetILNS1_3genE2ELNS1_11target_archE906ELNS1_3gpuE6ELNS1_3repE0EEENS1_30default_config_static_selectorELNS0_4arch9wavefront6targetE0EEEvT1_.num_agpr, 0
	.set _ZN7rocprim17ROCPRIM_400000_NS6detail17trampoline_kernelINS0_14default_configENS1_20scan_config_selectorIjEEZZNS1_9scan_implILNS1_25lookback_scan_determinismE0ELb1ELb1ES3_PjS8_jN6hipcub16HIPCUB_304000_NS3SumEjEEDaPvRmT3_T4_T5_mT6_P12ihipStream_tbENKUlT_T0_E_clISt17integral_constantIbLb0EESP_EEDaSK_SL_EUlSK_E_NS1_11comp_targetILNS1_3genE2ELNS1_11target_archE906ELNS1_3gpuE6ELNS1_3repE0EEENS1_30default_config_static_selectorELNS0_4arch9wavefront6targetE0EEEvT1_.numbered_sgpr, 0
	.set _ZN7rocprim17ROCPRIM_400000_NS6detail17trampoline_kernelINS0_14default_configENS1_20scan_config_selectorIjEEZZNS1_9scan_implILNS1_25lookback_scan_determinismE0ELb1ELb1ES3_PjS8_jN6hipcub16HIPCUB_304000_NS3SumEjEEDaPvRmT3_T4_T5_mT6_P12ihipStream_tbENKUlT_T0_E_clISt17integral_constantIbLb0EESP_EEDaSK_SL_EUlSK_E_NS1_11comp_targetILNS1_3genE2ELNS1_11target_archE906ELNS1_3gpuE6ELNS1_3repE0EEENS1_30default_config_static_selectorELNS0_4arch9wavefront6targetE0EEEvT1_.num_named_barrier, 0
	.set _ZN7rocprim17ROCPRIM_400000_NS6detail17trampoline_kernelINS0_14default_configENS1_20scan_config_selectorIjEEZZNS1_9scan_implILNS1_25lookback_scan_determinismE0ELb1ELb1ES3_PjS8_jN6hipcub16HIPCUB_304000_NS3SumEjEEDaPvRmT3_T4_T5_mT6_P12ihipStream_tbENKUlT_T0_E_clISt17integral_constantIbLb0EESP_EEDaSK_SL_EUlSK_E_NS1_11comp_targetILNS1_3genE2ELNS1_11target_archE906ELNS1_3gpuE6ELNS1_3repE0EEENS1_30default_config_static_selectorELNS0_4arch9wavefront6targetE0EEEvT1_.private_seg_size, 0
	.set _ZN7rocprim17ROCPRIM_400000_NS6detail17trampoline_kernelINS0_14default_configENS1_20scan_config_selectorIjEEZZNS1_9scan_implILNS1_25lookback_scan_determinismE0ELb1ELb1ES3_PjS8_jN6hipcub16HIPCUB_304000_NS3SumEjEEDaPvRmT3_T4_T5_mT6_P12ihipStream_tbENKUlT_T0_E_clISt17integral_constantIbLb0EESP_EEDaSK_SL_EUlSK_E_NS1_11comp_targetILNS1_3genE2ELNS1_11target_archE906ELNS1_3gpuE6ELNS1_3repE0EEENS1_30default_config_static_selectorELNS0_4arch9wavefront6targetE0EEEvT1_.uses_vcc, 0
	.set _ZN7rocprim17ROCPRIM_400000_NS6detail17trampoline_kernelINS0_14default_configENS1_20scan_config_selectorIjEEZZNS1_9scan_implILNS1_25lookback_scan_determinismE0ELb1ELb1ES3_PjS8_jN6hipcub16HIPCUB_304000_NS3SumEjEEDaPvRmT3_T4_T5_mT6_P12ihipStream_tbENKUlT_T0_E_clISt17integral_constantIbLb0EESP_EEDaSK_SL_EUlSK_E_NS1_11comp_targetILNS1_3genE2ELNS1_11target_archE906ELNS1_3gpuE6ELNS1_3repE0EEENS1_30default_config_static_selectorELNS0_4arch9wavefront6targetE0EEEvT1_.uses_flat_scratch, 0
	.set _ZN7rocprim17ROCPRIM_400000_NS6detail17trampoline_kernelINS0_14default_configENS1_20scan_config_selectorIjEEZZNS1_9scan_implILNS1_25lookback_scan_determinismE0ELb1ELb1ES3_PjS8_jN6hipcub16HIPCUB_304000_NS3SumEjEEDaPvRmT3_T4_T5_mT6_P12ihipStream_tbENKUlT_T0_E_clISt17integral_constantIbLb0EESP_EEDaSK_SL_EUlSK_E_NS1_11comp_targetILNS1_3genE2ELNS1_11target_archE906ELNS1_3gpuE6ELNS1_3repE0EEENS1_30default_config_static_selectorELNS0_4arch9wavefront6targetE0EEEvT1_.has_dyn_sized_stack, 0
	.set _ZN7rocprim17ROCPRIM_400000_NS6detail17trampoline_kernelINS0_14default_configENS1_20scan_config_selectorIjEEZZNS1_9scan_implILNS1_25lookback_scan_determinismE0ELb1ELb1ES3_PjS8_jN6hipcub16HIPCUB_304000_NS3SumEjEEDaPvRmT3_T4_T5_mT6_P12ihipStream_tbENKUlT_T0_E_clISt17integral_constantIbLb0EESP_EEDaSK_SL_EUlSK_E_NS1_11comp_targetILNS1_3genE2ELNS1_11target_archE906ELNS1_3gpuE6ELNS1_3repE0EEENS1_30default_config_static_selectorELNS0_4arch9wavefront6targetE0EEEvT1_.has_recursion, 0
	.set _ZN7rocprim17ROCPRIM_400000_NS6detail17trampoline_kernelINS0_14default_configENS1_20scan_config_selectorIjEEZZNS1_9scan_implILNS1_25lookback_scan_determinismE0ELb1ELb1ES3_PjS8_jN6hipcub16HIPCUB_304000_NS3SumEjEEDaPvRmT3_T4_T5_mT6_P12ihipStream_tbENKUlT_T0_E_clISt17integral_constantIbLb0EESP_EEDaSK_SL_EUlSK_E_NS1_11comp_targetILNS1_3genE2ELNS1_11target_archE906ELNS1_3gpuE6ELNS1_3repE0EEENS1_30default_config_static_selectorELNS0_4arch9wavefront6targetE0EEEvT1_.has_indirect_call, 0
	.section	.AMDGPU.csdata,"",@progbits
; Kernel info:
; codeLenInByte = 0
; TotalNumSgprs: 0
; NumVgprs: 0
; ScratchSize: 0
; MemoryBound: 0
; FloatMode: 240
; IeeeMode: 1
; LDSByteSize: 0 bytes/workgroup (compile time only)
; SGPRBlocks: 0
; VGPRBlocks: 0
; NumSGPRsForWavesPerEU: 1
; NumVGPRsForWavesPerEU: 1
; NamedBarCnt: 0
; Occupancy: 16
; WaveLimiterHint : 0
; COMPUTE_PGM_RSRC2:SCRATCH_EN: 0
; COMPUTE_PGM_RSRC2:USER_SGPR: 2
; COMPUTE_PGM_RSRC2:TRAP_HANDLER: 0
; COMPUTE_PGM_RSRC2:TGID_X_EN: 1
; COMPUTE_PGM_RSRC2:TGID_Y_EN: 0
; COMPUTE_PGM_RSRC2:TGID_Z_EN: 0
; COMPUTE_PGM_RSRC2:TIDIG_COMP_CNT: 0
	.section	.text._ZN7rocprim17ROCPRIM_400000_NS6detail17trampoline_kernelINS0_14default_configENS1_20scan_config_selectorIjEEZZNS1_9scan_implILNS1_25lookback_scan_determinismE0ELb1ELb1ES3_PjS8_jN6hipcub16HIPCUB_304000_NS3SumEjEEDaPvRmT3_T4_T5_mT6_P12ihipStream_tbENKUlT_T0_E_clISt17integral_constantIbLb0EESP_EEDaSK_SL_EUlSK_E_NS1_11comp_targetILNS1_3genE10ELNS1_11target_archE1201ELNS1_3gpuE5ELNS1_3repE0EEENS1_30default_config_static_selectorELNS0_4arch9wavefront6targetE0EEEvT1_,"axG",@progbits,_ZN7rocprim17ROCPRIM_400000_NS6detail17trampoline_kernelINS0_14default_configENS1_20scan_config_selectorIjEEZZNS1_9scan_implILNS1_25lookback_scan_determinismE0ELb1ELb1ES3_PjS8_jN6hipcub16HIPCUB_304000_NS3SumEjEEDaPvRmT3_T4_T5_mT6_P12ihipStream_tbENKUlT_T0_E_clISt17integral_constantIbLb0EESP_EEDaSK_SL_EUlSK_E_NS1_11comp_targetILNS1_3genE10ELNS1_11target_archE1201ELNS1_3gpuE5ELNS1_3repE0EEENS1_30default_config_static_selectorELNS0_4arch9wavefront6targetE0EEEvT1_,comdat
	.protected	_ZN7rocprim17ROCPRIM_400000_NS6detail17trampoline_kernelINS0_14default_configENS1_20scan_config_selectorIjEEZZNS1_9scan_implILNS1_25lookback_scan_determinismE0ELb1ELb1ES3_PjS8_jN6hipcub16HIPCUB_304000_NS3SumEjEEDaPvRmT3_T4_T5_mT6_P12ihipStream_tbENKUlT_T0_E_clISt17integral_constantIbLb0EESP_EEDaSK_SL_EUlSK_E_NS1_11comp_targetILNS1_3genE10ELNS1_11target_archE1201ELNS1_3gpuE5ELNS1_3repE0EEENS1_30default_config_static_selectorELNS0_4arch9wavefront6targetE0EEEvT1_ ; -- Begin function _ZN7rocprim17ROCPRIM_400000_NS6detail17trampoline_kernelINS0_14default_configENS1_20scan_config_selectorIjEEZZNS1_9scan_implILNS1_25lookback_scan_determinismE0ELb1ELb1ES3_PjS8_jN6hipcub16HIPCUB_304000_NS3SumEjEEDaPvRmT3_T4_T5_mT6_P12ihipStream_tbENKUlT_T0_E_clISt17integral_constantIbLb0EESP_EEDaSK_SL_EUlSK_E_NS1_11comp_targetILNS1_3genE10ELNS1_11target_archE1201ELNS1_3gpuE5ELNS1_3repE0EEENS1_30default_config_static_selectorELNS0_4arch9wavefront6targetE0EEEvT1_
	.globl	_ZN7rocprim17ROCPRIM_400000_NS6detail17trampoline_kernelINS0_14default_configENS1_20scan_config_selectorIjEEZZNS1_9scan_implILNS1_25lookback_scan_determinismE0ELb1ELb1ES3_PjS8_jN6hipcub16HIPCUB_304000_NS3SumEjEEDaPvRmT3_T4_T5_mT6_P12ihipStream_tbENKUlT_T0_E_clISt17integral_constantIbLb0EESP_EEDaSK_SL_EUlSK_E_NS1_11comp_targetILNS1_3genE10ELNS1_11target_archE1201ELNS1_3gpuE5ELNS1_3repE0EEENS1_30default_config_static_selectorELNS0_4arch9wavefront6targetE0EEEvT1_
	.p2align	8
	.type	_ZN7rocprim17ROCPRIM_400000_NS6detail17trampoline_kernelINS0_14default_configENS1_20scan_config_selectorIjEEZZNS1_9scan_implILNS1_25lookback_scan_determinismE0ELb1ELb1ES3_PjS8_jN6hipcub16HIPCUB_304000_NS3SumEjEEDaPvRmT3_T4_T5_mT6_P12ihipStream_tbENKUlT_T0_E_clISt17integral_constantIbLb0EESP_EEDaSK_SL_EUlSK_E_NS1_11comp_targetILNS1_3genE10ELNS1_11target_archE1201ELNS1_3gpuE5ELNS1_3repE0EEENS1_30default_config_static_selectorELNS0_4arch9wavefront6targetE0EEEvT1_,@function
_ZN7rocprim17ROCPRIM_400000_NS6detail17trampoline_kernelINS0_14default_configENS1_20scan_config_selectorIjEEZZNS1_9scan_implILNS1_25lookback_scan_determinismE0ELb1ELb1ES3_PjS8_jN6hipcub16HIPCUB_304000_NS3SumEjEEDaPvRmT3_T4_T5_mT6_P12ihipStream_tbENKUlT_T0_E_clISt17integral_constantIbLb0EESP_EEDaSK_SL_EUlSK_E_NS1_11comp_targetILNS1_3genE10ELNS1_11target_archE1201ELNS1_3gpuE5ELNS1_3repE0EEENS1_30default_config_static_selectorELNS0_4arch9wavefront6targetE0EEEvT1_: ; @_ZN7rocprim17ROCPRIM_400000_NS6detail17trampoline_kernelINS0_14default_configENS1_20scan_config_selectorIjEEZZNS1_9scan_implILNS1_25lookback_scan_determinismE0ELb1ELb1ES3_PjS8_jN6hipcub16HIPCUB_304000_NS3SumEjEEDaPvRmT3_T4_T5_mT6_P12ihipStream_tbENKUlT_T0_E_clISt17integral_constantIbLb0EESP_EEDaSK_SL_EUlSK_E_NS1_11comp_targetILNS1_3genE10ELNS1_11target_archE1201ELNS1_3gpuE5ELNS1_3repE0EEENS1_30default_config_static_selectorELNS0_4arch9wavefront6targetE0EEEvT1_
; %bb.0:
	.section	.rodata,"a",@progbits
	.p2align	6, 0x0
	.amdhsa_kernel _ZN7rocprim17ROCPRIM_400000_NS6detail17trampoline_kernelINS0_14default_configENS1_20scan_config_selectorIjEEZZNS1_9scan_implILNS1_25lookback_scan_determinismE0ELb1ELb1ES3_PjS8_jN6hipcub16HIPCUB_304000_NS3SumEjEEDaPvRmT3_T4_T5_mT6_P12ihipStream_tbENKUlT_T0_E_clISt17integral_constantIbLb0EESP_EEDaSK_SL_EUlSK_E_NS1_11comp_targetILNS1_3genE10ELNS1_11target_archE1201ELNS1_3gpuE5ELNS1_3repE0EEENS1_30default_config_static_selectorELNS0_4arch9wavefront6targetE0EEEvT1_
		.amdhsa_group_segment_fixed_size 0
		.amdhsa_private_segment_fixed_size 0
		.amdhsa_kernarg_size 96
		.amdhsa_user_sgpr_count 2
		.amdhsa_user_sgpr_dispatch_ptr 0
		.amdhsa_user_sgpr_queue_ptr 0
		.amdhsa_user_sgpr_kernarg_segment_ptr 1
		.amdhsa_user_sgpr_dispatch_id 0
		.amdhsa_user_sgpr_kernarg_preload_length 0
		.amdhsa_user_sgpr_kernarg_preload_offset 0
		.amdhsa_user_sgpr_private_segment_size 0
		.amdhsa_wavefront_size32 1
		.amdhsa_uses_dynamic_stack 0
		.amdhsa_enable_private_segment 0
		.amdhsa_system_sgpr_workgroup_id_x 1
		.amdhsa_system_sgpr_workgroup_id_y 0
		.amdhsa_system_sgpr_workgroup_id_z 0
		.amdhsa_system_sgpr_workgroup_info 0
		.amdhsa_system_vgpr_workitem_id 0
		.amdhsa_next_free_vgpr 1
		.amdhsa_next_free_sgpr 1
		.amdhsa_named_barrier_count 0
		.amdhsa_reserve_vcc 0
		.amdhsa_float_round_mode_32 0
		.amdhsa_float_round_mode_16_64 0
		.amdhsa_float_denorm_mode_32 3
		.amdhsa_float_denorm_mode_16_64 3
		.amdhsa_fp16_overflow 0
		.amdhsa_memory_ordered 1
		.amdhsa_forward_progress 1
		.amdhsa_inst_pref_size 0
		.amdhsa_round_robin_scheduling 0
		.amdhsa_exception_fp_ieee_invalid_op 0
		.amdhsa_exception_fp_denorm_src 0
		.amdhsa_exception_fp_ieee_div_zero 0
		.amdhsa_exception_fp_ieee_overflow 0
		.amdhsa_exception_fp_ieee_underflow 0
		.amdhsa_exception_fp_ieee_inexact 0
		.amdhsa_exception_int_div_zero 0
	.end_amdhsa_kernel
	.section	.text._ZN7rocprim17ROCPRIM_400000_NS6detail17trampoline_kernelINS0_14default_configENS1_20scan_config_selectorIjEEZZNS1_9scan_implILNS1_25lookback_scan_determinismE0ELb1ELb1ES3_PjS8_jN6hipcub16HIPCUB_304000_NS3SumEjEEDaPvRmT3_T4_T5_mT6_P12ihipStream_tbENKUlT_T0_E_clISt17integral_constantIbLb0EESP_EEDaSK_SL_EUlSK_E_NS1_11comp_targetILNS1_3genE10ELNS1_11target_archE1201ELNS1_3gpuE5ELNS1_3repE0EEENS1_30default_config_static_selectorELNS0_4arch9wavefront6targetE0EEEvT1_,"axG",@progbits,_ZN7rocprim17ROCPRIM_400000_NS6detail17trampoline_kernelINS0_14default_configENS1_20scan_config_selectorIjEEZZNS1_9scan_implILNS1_25lookback_scan_determinismE0ELb1ELb1ES3_PjS8_jN6hipcub16HIPCUB_304000_NS3SumEjEEDaPvRmT3_T4_T5_mT6_P12ihipStream_tbENKUlT_T0_E_clISt17integral_constantIbLb0EESP_EEDaSK_SL_EUlSK_E_NS1_11comp_targetILNS1_3genE10ELNS1_11target_archE1201ELNS1_3gpuE5ELNS1_3repE0EEENS1_30default_config_static_selectorELNS0_4arch9wavefront6targetE0EEEvT1_,comdat
.Lfunc_end7:
	.size	_ZN7rocprim17ROCPRIM_400000_NS6detail17trampoline_kernelINS0_14default_configENS1_20scan_config_selectorIjEEZZNS1_9scan_implILNS1_25lookback_scan_determinismE0ELb1ELb1ES3_PjS8_jN6hipcub16HIPCUB_304000_NS3SumEjEEDaPvRmT3_T4_T5_mT6_P12ihipStream_tbENKUlT_T0_E_clISt17integral_constantIbLb0EESP_EEDaSK_SL_EUlSK_E_NS1_11comp_targetILNS1_3genE10ELNS1_11target_archE1201ELNS1_3gpuE5ELNS1_3repE0EEENS1_30default_config_static_selectorELNS0_4arch9wavefront6targetE0EEEvT1_, .Lfunc_end7-_ZN7rocprim17ROCPRIM_400000_NS6detail17trampoline_kernelINS0_14default_configENS1_20scan_config_selectorIjEEZZNS1_9scan_implILNS1_25lookback_scan_determinismE0ELb1ELb1ES3_PjS8_jN6hipcub16HIPCUB_304000_NS3SumEjEEDaPvRmT3_T4_T5_mT6_P12ihipStream_tbENKUlT_T0_E_clISt17integral_constantIbLb0EESP_EEDaSK_SL_EUlSK_E_NS1_11comp_targetILNS1_3genE10ELNS1_11target_archE1201ELNS1_3gpuE5ELNS1_3repE0EEENS1_30default_config_static_selectorELNS0_4arch9wavefront6targetE0EEEvT1_
                                        ; -- End function
	.set _ZN7rocprim17ROCPRIM_400000_NS6detail17trampoline_kernelINS0_14default_configENS1_20scan_config_selectorIjEEZZNS1_9scan_implILNS1_25lookback_scan_determinismE0ELb1ELb1ES3_PjS8_jN6hipcub16HIPCUB_304000_NS3SumEjEEDaPvRmT3_T4_T5_mT6_P12ihipStream_tbENKUlT_T0_E_clISt17integral_constantIbLb0EESP_EEDaSK_SL_EUlSK_E_NS1_11comp_targetILNS1_3genE10ELNS1_11target_archE1201ELNS1_3gpuE5ELNS1_3repE0EEENS1_30default_config_static_selectorELNS0_4arch9wavefront6targetE0EEEvT1_.num_vgpr, 0
	.set _ZN7rocprim17ROCPRIM_400000_NS6detail17trampoline_kernelINS0_14default_configENS1_20scan_config_selectorIjEEZZNS1_9scan_implILNS1_25lookback_scan_determinismE0ELb1ELb1ES3_PjS8_jN6hipcub16HIPCUB_304000_NS3SumEjEEDaPvRmT3_T4_T5_mT6_P12ihipStream_tbENKUlT_T0_E_clISt17integral_constantIbLb0EESP_EEDaSK_SL_EUlSK_E_NS1_11comp_targetILNS1_3genE10ELNS1_11target_archE1201ELNS1_3gpuE5ELNS1_3repE0EEENS1_30default_config_static_selectorELNS0_4arch9wavefront6targetE0EEEvT1_.num_agpr, 0
	.set _ZN7rocprim17ROCPRIM_400000_NS6detail17trampoline_kernelINS0_14default_configENS1_20scan_config_selectorIjEEZZNS1_9scan_implILNS1_25lookback_scan_determinismE0ELb1ELb1ES3_PjS8_jN6hipcub16HIPCUB_304000_NS3SumEjEEDaPvRmT3_T4_T5_mT6_P12ihipStream_tbENKUlT_T0_E_clISt17integral_constantIbLb0EESP_EEDaSK_SL_EUlSK_E_NS1_11comp_targetILNS1_3genE10ELNS1_11target_archE1201ELNS1_3gpuE5ELNS1_3repE0EEENS1_30default_config_static_selectorELNS0_4arch9wavefront6targetE0EEEvT1_.numbered_sgpr, 0
	.set _ZN7rocprim17ROCPRIM_400000_NS6detail17trampoline_kernelINS0_14default_configENS1_20scan_config_selectorIjEEZZNS1_9scan_implILNS1_25lookback_scan_determinismE0ELb1ELb1ES3_PjS8_jN6hipcub16HIPCUB_304000_NS3SumEjEEDaPvRmT3_T4_T5_mT6_P12ihipStream_tbENKUlT_T0_E_clISt17integral_constantIbLb0EESP_EEDaSK_SL_EUlSK_E_NS1_11comp_targetILNS1_3genE10ELNS1_11target_archE1201ELNS1_3gpuE5ELNS1_3repE0EEENS1_30default_config_static_selectorELNS0_4arch9wavefront6targetE0EEEvT1_.num_named_barrier, 0
	.set _ZN7rocprim17ROCPRIM_400000_NS6detail17trampoline_kernelINS0_14default_configENS1_20scan_config_selectorIjEEZZNS1_9scan_implILNS1_25lookback_scan_determinismE0ELb1ELb1ES3_PjS8_jN6hipcub16HIPCUB_304000_NS3SumEjEEDaPvRmT3_T4_T5_mT6_P12ihipStream_tbENKUlT_T0_E_clISt17integral_constantIbLb0EESP_EEDaSK_SL_EUlSK_E_NS1_11comp_targetILNS1_3genE10ELNS1_11target_archE1201ELNS1_3gpuE5ELNS1_3repE0EEENS1_30default_config_static_selectorELNS0_4arch9wavefront6targetE0EEEvT1_.private_seg_size, 0
	.set _ZN7rocprim17ROCPRIM_400000_NS6detail17trampoline_kernelINS0_14default_configENS1_20scan_config_selectorIjEEZZNS1_9scan_implILNS1_25lookback_scan_determinismE0ELb1ELb1ES3_PjS8_jN6hipcub16HIPCUB_304000_NS3SumEjEEDaPvRmT3_T4_T5_mT6_P12ihipStream_tbENKUlT_T0_E_clISt17integral_constantIbLb0EESP_EEDaSK_SL_EUlSK_E_NS1_11comp_targetILNS1_3genE10ELNS1_11target_archE1201ELNS1_3gpuE5ELNS1_3repE0EEENS1_30default_config_static_selectorELNS0_4arch9wavefront6targetE0EEEvT1_.uses_vcc, 0
	.set _ZN7rocprim17ROCPRIM_400000_NS6detail17trampoline_kernelINS0_14default_configENS1_20scan_config_selectorIjEEZZNS1_9scan_implILNS1_25lookback_scan_determinismE0ELb1ELb1ES3_PjS8_jN6hipcub16HIPCUB_304000_NS3SumEjEEDaPvRmT3_T4_T5_mT6_P12ihipStream_tbENKUlT_T0_E_clISt17integral_constantIbLb0EESP_EEDaSK_SL_EUlSK_E_NS1_11comp_targetILNS1_3genE10ELNS1_11target_archE1201ELNS1_3gpuE5ELNS1_3repE0EEENS1_30default_config_static_selectorELNS0_4arch9wavefront6targetE0EEEvT1_.uses_flat_scratch, 0
	.set _ZN7rocprim17ROCPRIM_400000_NS6detail17trampoline_kernelINS0_14default_configENS1_20scan_config_selectorIjEEZZNS1_9scan_implILNS1_25lookback_scan_determinismE0ELb1ELb1ES3_PjS8_jN6hipcub16HIPCUB_304000_NS3SumEjEEDaPvRmT3_T4_T5_mT6_P12ihipStream_tbENKUlT_T0_E_clISt17integral_constantIbLb0EESP_EEDaSK_SL_EUlSK_E_NS1_11comp_targetILNS1_3genE10ELNS1_11target_archE1201ELNS1_3gpuE5ELNS1_3repE0EEENS1_30default_config_static_selectorELNS0_4arch9wavefront6targetE0EEEvT1_.has_dyn_sized_stack, 0
	.set _ZN7rocprim17ROCPRIM_400000_NS6detail17trampoline_kernelINS0_14default_configENS1_20scan_config_selectorIjEEZZNS1_9scan_implILNS1_25lookback_scan_determinismE0ELb1ELb1ES3_PjS8_jN6hipcub16HIPCUB_304000_NS3SumEjEEDaPvRmT3_T4_T5_mT6_P12ihipStream_tbENKUlT_T0_E_clISt17integral_constantIbLb0EESP_EEDaSK_SL_EUlSK_E_NS1_11comp_targetILNS1_3genE10ELNS1_11target_archE1201ELNS1_3gpuE5ELNS1_3repE0EEENS1_30default_config_static_selectorELNS0_4arch9wavefront6targetE0EEEvT1_.has_recursion, 0
	.set _ZN7rocprim17ROCPRIM_400000_NS6detail17trampoline_kernelINS0_14default_configENS1_20scan_config_selectorIjEEZZNS1_9scan_implILNS1_25lookback_scan_determinismE0ELb1ELb1ES3_PjS8_jN6hipcub16HIPCUB_304000_NS3SumEjEEDaPvRmT3_T4_T5_mT6_P12ihipStream_tbENKUlT_T0_E_clISt17integral_constantIbLb0EESP_EEDaSK_SL_EUlSK_E_NS1_11comp_targetILNS1_3genE10ELNS1_11target_archE1201ELNS1_3gpuE5ELNS1_3repE0EEENS1_30default_config_static_selectorELNS0_4arch9wavefront6targetE0EEEvT1_.has_indirect_call, 0
	.section	.AMDGPU.csdata,"",@progbits
; Kernel info:
; codeLenInByte = 0
; TotalNumSgprs: 0
; NumVgprs: 0
; ScratchSize: 0
; MemoryBound: 0
; FloatMode: 240
; IeeeMode: 1
; LDSByteSize: 0 bytes/workgroup (compile time only)
; SGPRBlocks: 0
; VGPRBlocks: 0
; NumSGPRsForWavesPerEU: 1
; NumVGPRsForWavesPerEU: 1
; NamedBarCnt: 0
; Occupancy: 16
; WaveLimiterHint : 0
; COMPUTE_PGM_RSRC2:SCRATCH_EN: 0
; COMPUTE_PGM_RSRC2:USER_SGPR: 2
; COMPUTE_PGM_RSRC2:TRAP_HANDLER: 0
; COMPUTE_PGM_RSRC2:TGID_X_EN: 1
; COMPUTE_PGM_RSRC2:TGID_Y_EN: 0
; COMPUTE_PGM_RSRC2:TGID_Z_EN: 0
; COMPUTE_PGM_RSRC2:TIDIG_COMP_CNT: 0
	.section	.text._ZN7rocprim17ROCPRIM_400000_NS6detail17trampoline_kernelINS0_14default_configENS1_20scan_config_selectorIjEEZZNS1_9scan_implILNS1_25lookback_scan_determinismE0ELb1ELb1ES3_PjS8_jN6hipcub16HIPCUB_304000_NS3SumEjEEDaPvRmT3_T4_T5_mT6_P12ihipStream_tbENKUlT_T0_E_clISt17integral_constantIbLb0EESP_EEDaSK_SL_EUlSK_E_NS1_11comp_targetILNS1_3genE10ELNS1_11target_archE1200ELNS1_3gpuE4ELNS1_3repE0EEENS1_30default_config_static_selectorELNS0_4arch9wavefront6targetE0EEEvT1_,"axG",@progbits,_ZN7rocprim17ROCPRIM_400000_NS6detail17trampoline_kernelINS0_14default_configENS1_20scan_config_selectorIjEEZZNS1_9scan_implILNS1_25lookback_scan_determinismE0ELb1ELb1ES3_PjS8_jN6hipcub16HIPCUB_304000_NS3SumEjEEDaPvRmT3_T4_T5_mT6_P12ihipStream_tbENKUlT_T0_E_clISt17integral_constantIbLb0EESP_EEDaSK_SL_EUlSK_E_NS1_11comp_targetILNS1_3genE10ELNS1_11target_archE1200ELNS1_3gpuE4ELNS1_3repE0EEENS1_30default_config_static_selectorELNS0_4arch9wavefront6targetE0EEEvT1_,comdat
	.protected	_ZN7rocprim17ROCPRIM_400000_NS6detail17trampoline_kernelINS0_14default_configENS1_20scan_config_selectorIjEEZZNS1_9scan_implILNS1_25lookback_scan_determinismE0ELb1ELb1ES3_PjS8_jN6hipcub16HIPCUB_304000_NS3SumEjEEDaPvRmT3_T4_T5_mT6_P12ihipStream_tbENKUlT_T0_E_clISt17integral_constantIbLb0EESP_EEDaSK_SL_EUlSK_E_NS1_11comp_targetILNS1_3genE10ELNS1_11target_archE1200ELNS1_3gpuE4ELNS1_3repE0EEENS1_30default_config_static_selectorELNS0_4arch9wavefront6targetE0EEEvT1_ ; -- Begin function _ZN7rocprim17ROCPRIM_400000_NS6detail17trampoline_kernelINS0_14default_configENS1_20scan_config_selectorIjEEZZNS1_9scan_implILNS1_25lookback_scan_determinismE0ELb1ELb1ES3_PjS8_jN6hipcub16HIPCUB_304000_NS3SumEjEEDaPvRmT3_T4_T5_mT6_P12ihipStream_tbENKUlT_T0_E_clISt17integral_constantIbLb0EESP_EEDaSK_SL_EUlSK_E_NS1_11comp_targetILNS1_3genE10ELNS1_11target_archE1200ELNS1_3gpuE4ELNS1_3repE0EEENS1_30default_config_static_selectorELNS0_4arch9wavefront6targetE0EEEvT1_
	.globl	_ZN7rocprim17ROCPRIM_400000_NS6detail17trampoline_kernelINS0_14default_configENS1_20scan_config_selectorIjEEZZNS1_9scan_implILNS1_25lookback_scan_determinismE0ELb1ELb1ES3_PjS8_jN6hipcub16HIPCUB_304000_NS3SumEjEEDaPvRmT3_T4_T5_mT6_P12ihipStream_tbENKUlT_T0_E_clISt17integral_constantIbLb0EESP_EEDaSK_SL_EUlSK_E_NS1_11comp_targetILNS1_3genE10ELNS1_11target_archE1200ELNS1_3gpuE4ELNS1_3repE0EEENS1_30default_config_static_selectorELNS0_4arch9wavefront6targetE0EEEvT1_
	.p2align	8
	.type	_ZN7rocprim17ROCPRIM_400000_NS6detail17trampoline_kernelINS0_14default_configENS1_20scan_config_selectorIjEEZZNS1_9scan_implILNS1_25lookback_scan_determinismE0ELb1ELb1ES3_PjS8_jN6hipcub16HIPCUB_304000_NS3SumEjEEDaPvRmT3_T4_T5_mT6_P12ihipStream_tbENKUlT_T0_E_clISt17integral_constantIbLb0EESP_EEDaSK_SL_EUlSK_E_NS1_11comp_targetILNS1_3genE10ELNS1_11target_archE1200ELNS1_3gpuE4ELNS1_3repE0EEENS1_30default_config_static_selectorELNS0_4arch9wavefront6targetE0EEEvT1_,@function
_ZN7rocprim17ROCPRIM_400000_NS6detail17trampoline_kernelINS0_14default_configENS1_20scan_config_selectorIjEEZZNS1_9scan_implILNS1_25lookback_scan_determinismE0ELb1ELb1ES3_PjS8_jN6hipcub16HIPCUB_304000_NS3SumEjEEDaPvRmT3_T4_T5_mT6_P12ihipStream_tbENKUlT_T0_E_clISt17integral_constantIbLb0EESP_EEDaSK_SL_EUlSK_E_NS1_11comp_targetILNS1_3genE10ELNS1_11target_archE1200ELNS1_3gpuE4ELNS1_3repE0EEENS1_30default_config_static_selectorELNS0_4arch9wavefront6targetE0EEEvT1_: ; @_ZN7rocprim17ROCPRIM_400000_NS6detail17trampoline_kernelINS0_14default_configENS1_20scan_config_selectorIjEEZZNS1_9scan_implILNS1_25lookback_scan_determinismE0ELb1ELb1ES3_PjS8_jN6hipcub16HIPCUB_304000_NS3SumEjEEDaPvRmT3_T4_T5_mT6_P12ihipStream_tbENKUlT_T0_E_clISt17integral_constantIbLb0EESP_EEDaSK_SL_EUlSK_E_NS1_11comp_targetILNS1_3genE10ELNS1_11target_archE1200ELNS1_3gpuE4ELNS1_3repE0EEENS1_30default_config_static_selectorELNS0_4arch9wavefront6targetE0EEEvT1_
; %bb.0:
	.section	.rodata,"a",@progbits
	.p2align	6, 0x0
	.amdhsa_kernel _ZN7rocprim17ROCPRIM_400000_NS6detail17trampoline_kernelINS0_14default_configENS1_20scan_config_selectorIjEEZZNS1_9scan_implILNS1_25lookback_scan_determinismE0ELb1ELb1ES3_PjS8_jN6hipcub16HIPCUB_304000_NS3SumEjEEDaPvRmT3_T4_T5_mT6_P12ihipStream_tbENKUlT_T0_E_clISt17integral_constantIbLb0EESP_EEDaSK_SL_EUlSK_E_NS1_11comp_targetILNS1_3genE10ELNS1_11target_archE1200ELNS1_3gpuE4ELNS1_3repE0EEENS1_30default_config_static_selectorELNS0_4arch9wavefront6targetE0EEEvT1_
		.amdhsa_group_segment_fixed_size 0
		.amdhsa_private_segment_fixed_size 0
		.amdhsa_kernarg_size 96
		.amdhsa_user_sgpr_count 2
		.amdhsa_user_sgpr_dispatch_ptr 0
		.amdhsa_user_sgpr_queue_ptr 0
		.amdhsa_user_sgpr_kernarg_segment_ptr 1
		.amdhsa_user_sgpr_dispatch_id 0
		.amdhsa_user_sgpr_kernarg_preload_length 0
		.amdhsa_user_sgpr_kernarg_preload_offset 0
		.amdhsa_user_sgpr_private_segment_size 0
		.amdhsa_wavefront_size32 1
		.amdhsa_uses_dynamic_stack 0
		.amdhsa_enable_private_segment 0
		.amdhsa_system_sgpr_workgroup_id_x 1
		.amdhsa_system_sgpr_workgroup_id_y 0
		.amdhsa_system_sgpr_workgroup_id_z 0
		.amdhsa_system_sgpr_workgroup_info 0
		.amdhsa_system_vgpr_workitem_id 0
		.amdhsa_next_free_vgpr 1
		.amdhsa_next_free_sgpr 1
		.amdhsa_named_barrier_count 0
		.amdhsa_reserve_vcc 0
		.amdhsa_float_round_mode_32 0
		.amdhsa_float_round_mode_16_64 0
		.amdhsa_float_denorm_mode_32 3
		.amdhsa_float_denorm_mode_16_64 3
		.amdhsa_fp16_overflow 0
		.amdhsa_memory_ordered 1
		.amdhsa_forward_progress 1
		.amdhsa_inst_pref_size 0
		.amdhsa_round_robin_scheduling 0
		.amdhsa_exception_fp_ieee_invalid_op 0
		.amdhsa_exception_fp_denorm_src 0
		.amdhsa_exception_fp_ieee_div_zero 0
		.amdhsa_exception_fp_ieee_overflow 0
		.amdhsa_exception_fp_ieee_underflow 0
		.amdhsa_exception_fp_ieee_inexact 0
		.amdhsa_exception_int_div_zero 0
	.end_amdhsa_kernel
	.section	.text._ZN7rocprim17ROCPRIM_400000_NS6detail17trampoline_kernelINS0_14default_configENS1_20scan_config_selectorIjEEZZNS1_9scan_implILNS1_25lookback_scan_determinismE0ELb1ELb1ES3_PjS8_jN6hipcub16HIPCUB_304000_NS3SumEjEEDaPvRmT3_T4_T5_mT6_P12ihipStream_tbENKUlT_T0_E_clISt17integral_constantIbLb0EESP_EEDaSK_SL_EUlSK_E_NS1_11comp_targetILNS1_3genE10ELNS1_11target_archE1200ELNS1_3gpuE4ELNS1_3repE0EEENS1_30default_config_static_selectorELNS0_4arch9wavefront6targetE0EEEvT1_,"axG",@progbits,_ZN7rocprim17ROCPRIM_400000_NS6detail17trampoline_kernelINS0_14default_configENS1_20scan_config_selectorIjEEZZNS1_9scan_implILNS1_25lookback_scan_determinismE0ELb1ELb1ES3_PjS8_jN6hipcub16HIPCUB_304000_NS3SumEjEEDaPvRmT3_T4_T5_mT6_P12ihipStream_tbENKUlT_T0_E_clISt17integral_constantIbLb0EESP_EEDaSK_SL_EUlSK_E_NS1_11comp_targetILNS1_3genE10ELNS1_11target_archE1200ELNS1_3gpuE4ELNS1_3repE0EEENS1_30default_config_static_selectorELNS0_4arch9wavefront6targetE0EEEvT1_,comdat
.Lfunc_end8:
	.size	_ZN7rocprim17ROCPRIM_400000_NS6detail17trampoline_kernelINS0_14default_configENS1_20scan_config_selectorIjEEZZNS1_9scan_implILNS1_25lookback_scan_determinismE0ELb1ELb1ES3_PjS8_jN6hipcub16HIPCUB_304000_NS3SumEjEEDaPvRmT3_T4_T5_mT6_P12ihipStream_tbENKUlT_T0_E_clISt17integral_constantIbLb0EESP_EEDaSK_SL_EUlSK_E_NS1_11comp_targetILNS1_3genE10ELNS1_11target_archE1200ELNS1_3gpuE4ELNS1_3repE0EEENS1_30default_config_static_selectorELNS0_4arch9wavefront6targetE0EEEvT1_, .Lfunc_end8-_ZN7rocprim17ROCPRIM_400000_NS6detail17trampoline_kernelINS0_14default_configENS1_20scan_config_selectorIjEEZZNS1_9scan_implILNS1_25lookback_scan_determinismE0ELb1ELb1ES3_PjS8_jN6hipcub16HIPCUB_304000_NS3SumEjEEDaPvRmT3_T4_T5_mT6_P12ihipStream_tbENKUlT_T0_E_clISt17integral_constantIbLb0EESP_EEDaSK_SL_EUlSK_E_NS1_11comp_targetILNS1_3genE10ELNS1_11target_archE1200ELNS1_3gpuE4ELNS1_3repE0EEENS1_30default_config_static_selectorELNS0_4arch9wavefront6targetE0EEEvT1_
                                        ; -- End function
	.set _ZN7rocprim17ROCPRIM_400000_NS6detail17trampoline_kernelINS0_14default_configENS1_20scan_config_selectorIjEEZZNS1_9scan_implILNS1_25lookback_scan_determinismE0ELb1ELb1ES3_PjS8_jN6hipcub16HIPCUB_304000_NS3SumEjEEDaPvRmT3_T4_T5_mT6_P12ihipStream_tbENKUlT_T0_E_clISt17integral_constantIbLb0EESP_EEDaSK_SL_EUlSK_E_NS1_11comp_targetILNS1_3genE10ELNS1_11target_archE1200ELNS1_3gpuE4ELNS1_3repE0EEENS1_30default_config_static_selectorELNS0_4arch9wavefront6targetE0EEEvT1_.num_vgpr, 0
	.set _ZN7rocprim17ROCPRIM_400000_NS6detail17trampoline_kernelINS0_14default_configENS1_20scan_config_selectorIjEEZZNS1_9scan_implILNS1_25lookback_scan_determinismE0ELb1ELb1ES3_PjS8_jN6hipcub16HIPCUB_304000_NS3SumEjEEDaPvRmT3_T4_T5_mT6_P12ihipStream_tbENKUlT_T0_E_clISt17integral_constantIbLb0EESP_EEDaSK_SL_EUlSK_E_NS1_11comp_targetILNS1_3genE10ELNS1_11target_archE1200ELNS1_3gpuE4ELNS1_3repE0EEENS1_30default_config_static_selectorELNS0_4arch9wavefront6targetE0EEEvT1_.num_agpr, 0
	.set _ZN7rocprim17ROCPRIM_400000_NS6detail17trampoline_kernelINS0_14default_configENS1_20scan_config_selectorIjEEZZNS1_9scan_implILNS1_25lookback_scan_determinismE0ELb1ELb1ES3_PjS8_jN6hipcub16HIPCUB_304000_NS3SumEjEEDaPvRmT3_T4_T5_mT6_P12ihipStream_tbENKUlT_T0_E_clISt17integral_constantIbLb0EESP_EEDaSK_SL_EUlSK_E_NS1_11comp_targetILNS1_3genE10ELNS1_11target_archE1200ELNS1_3gpuE4ELNS1_3repE0EEENS1_30default_config_static_selectorELNS0_4arch9wavefront6targetE0EEEvT1_.numbered_sgpr, 0
	.set _ZN7rocprim17ROCPRIM_400000_NS6detail17trampoline_kernelINS0_14default_configENS1_20scan_config_selectorIjEEZZNS1_9scan_implILNS1_25lookback_scan_determinismE0ELb1ELb1ES3_PjS8_jN6hipcub16HIPCUB_304000_NS3SumEjEEDaPvRmT3_T4_T5_mT6_P12ihipStream_tbENKUlT_T0_E_clISt17integral_constantIbLb0EESP_EEDaSK_SL_EUlSK_E_NS1_11comp_targetILNS1_3genE10ELNS1_11target_archE1200ELNS1_3gpuE4ELNS1_3repE0EEENS1_30default_config_static_selectorELNS0_4arch9wavefront6targetE0EEEvT1_.num_named_barrier, 0
	.set _ZN7rocprim17ROCPRIM_400000_NS6detail17trampoline_kernelINS0_14default_configENS1_20scan_config_selectorIjEEZZNS1_9scan_implILNS1_25lookback_scan_determinismE0ELb1ELb1ES3_PjS8_jN6hipcub16HIPCUB_304000_NS3SumEjEEDaPvRmT3_T4_T5_mT6_P12ihipStream_tbENKUlT_T0_E_clISt17integral_constantIbLb0EESP_EEDaSK_SL_EUlSK_E_NS1_11comp_targetILNS1_3genE10ELNS1_11target_archE1200ELNS1_3gpuE4ELNS1_3repE0EEENS1_30default_config_static_selectorELNS0_4arch9wavefront6targetE0EEEvT1_.private_seg_size, 0
	.set _ZN7rocprim17ROCPRIM_400000_NS6detail17trampoline_kernelINS0_14default_configENS1_20scan_config_selectorIjEEZZNS1_9scan_implILNS1_25lookback_scan_determinismE0ELb1ELb1ES3_PjS8_jN6hipcub16HIPCUB_304000_NS3SumEjEEDaPvRmT3_T4_T5_mT6_P12ihipStream_tbENKUlT_T0_E_clISt17integral_constantIbLb0EESP_EEDaSK_SL_EUlSK_E_NS1_11comp_targetILNS1_3genE10ELNS1_11target_archE1200ELNS1_3gpuE4ELNS1_3repE0EEENS1_30default_config_static_selectorELNS0_4arch9wavefront6targetE0EEEvT1_.uses_vcc, 0
	.set _ZN7rocprim17ROCPRIM_400000_NS6detail17trampoline_kernelINS0_14default_configENS1_20scan_config_selectorIjEEZZNS1_9scan_implILNS1_25lookback_scan_determinismE0ELb1ELb1ES3_PjS8_jN6hipcub16HIPCUB_304000_NS3SumEjEEDaPvRmT3_T4_T5_mT6_P12ihipStream_tbENKUlT_T0_E_clISt17integral_constantIbLb0EESP_EEDaSK_SL_EUlSK_E_NS1_11comp_targetILNS1_3genE10ELNS1_11target_archE1200ELNS1_3gpuE4ELNS1_3repE0EEENS1_30default_config_static_selectorELNS0_4arch9wavefront6targetE0EEEvT1_.uses_flat_scratch, 0
	.set _ZN7rocprim17ROCPRIM_400000_NS6detail17trampoline_kernelINS0_14default_configENS1_20scan_config_selectorIjEEZZNS1_9scan_implILNS1_25lookback_scan_determinismE0ELb1ELb1ES3_PjS8_jN6hipcub16HIPCUB_304000_NS3SumEjEEDaPvRmT3_T4_T5_mT6_P12ihipStream_tbENKUlT_T0_E_clISt17integral_constantIbLb0EESP_EEDaSK_SL_EUlSK_E_NS1_11comp_targetILNS1_3genE10ELNS1_11target_archE1200ELNS1_3gpuE4ELNS1_3repE0EEENS1_30default_config_static_selectorELNS0_4arch9wavefront6targetE0EEEvT1_.has_dyn_sized_stack, 0
	.set _ZN7rocprim17ROCPRIM_400000_NS6detail17trampoline_kernelINS0_14default_configENS1_20scan_config_selectorIjEEZZNS1_9scan_implILNS1_25lookback_scan_determinismE0ELb1ELb1ES3_PjS8_jN6hipcub16HIPCUB_304000_NS3SumEjEEDaPvRmT3_T4_T5_mT6_P12ihipStream_tbENKUlT_T0_E_clISt17integral_constantIbLb0EESP_EEDaSK_SL_EUlSK_E_NS1_11comp_targetILNS1_3genE10ELNS1_11target_archE1200ELNS1_3gpuE4ELNS1_3repE0EEENS1_30default_config_static_selectorELNS0_4arch9wavefront6targetE0EEEvT1_.has_recursion, 0
	.set _ZN7rocprim17ROCPRIM_400000_NS6detail17trampoline_kernelINS0_14default_configENS1_20scan_config_selectorIjEEZZNS1_9scan_implILNS1_25lookback_scan_determinismE0ELb1ELb1ES3_PjS8_jN6hipcub16HIPCUB_304000_NS3SumEjEEDaPvRmT3_T4_T5_mT6_P12ihipStream_tbENKUlT_T0_E_clISt17integral_constantIbLb0EESP_EEDaSK_SL_EUlSK_E_NS1_11comp_targetILNS1_3genE10ELNS1_11target_archE1200ELNS1_3gpuE4ELNS1_3repE0EEENS1_30default_config_static_selectorELNS0_4arch9wavefront6targetE0EEEvT1_.has_indirect_call, 0
	.section	.AMDGPU.csdata,"",@progbits
; Kernel info:
; codeLenInByte = 0
; TotalNumSgprs: 0
; NumVgprs: 0
; ScratchSize: 0
; MemoryBound: 0
; FloatMode: 240
; IeeeMode: 1
; LDSByteSize: 0 bytes/workgroup (compile time only)
; SGPRBlocks: 0
; VGPRBlocks: 0
; NumSGPRsForWavesPerEU: 1
; NumVGPRsForWavesPerEU: 1
; NamedBarCnt: 0
; Occupancy: 16
; WaveLimiterHint : 0
; COMPUTE_PGM_RSRC2:SCRATCH_EN: 0
; COMPUTE_PGM_RSRC2:USER_SGPR: 2
; COMPUTE_PGM_RSRC2:TRAP_HANDLER: 0
; COMPUTE_PGM_RSRC2:TGID_X_EN: 1
; COMPUTE_PGM_RSRC2:TGID_Y_EN: 0
; COMPUTE_PGM_RSRC2:TGID_Z_EN: 0
; COMPUTE_PGM_RSRC2:TIDIG_COMP_CNT: 0
	.section	.text._ZN7rocprim17ROCPRIM_400000_NS6detail17trampoline_kernelINS0_14default_configENS1_20scan_config_selectorIjEEZZNS1_9scan_implILNS1_25lookback_scan_determinismE0ELb1ELb1ES3_PjS8_jN6hipcub16HIPCUB_304000_NS3SumEjEEDaPvRmT3_T4_T5_mT6_P12ihipStream_tbENKUlT_T0_E_clISt17integral_constantIbLb0EESP_EEDaSK_SL_EUlSK_E_NS1_11comp_targetILNS1_3genE9ELNS1_11target_archE1100ELNS1_3gpuE3ELNS1_3repE0EEENS1_30default_config_static_selectorELNS0_4arch9wavefront6targetE0EEEvT1_,"axG",@progbits,_ZN7rocprim17ROCPRIM_400000_NS6detail17trampoline_kernelINS0_14default_configENS1_20scan_config_selectorIjEEZZNS1_9scan_implILNS1_25lookback_scan_determinismE0ELb1ELb1ES3_PjS8_jN6hipcub16HIPCUB_304000_NS3SumEjEEDaPvRmT3_T4_T5_mT6_P12ihipStream_tbENKUlT_T0_E_clISt17integral_constantIbLb0EESP_EEDaSK_SL_EUlSK_E_NS1_11comp_targetILNS1_3genE9ELNS1_11target_archE1100ELNS1_3gpuE3ELNS1_3repE0EEENS1_30default_config_static_selectorELNS0_4arch9wavefront6targetE0EEEvT1_,comdat
	.protected	_ZN7rocprim17ROCPRIM_400000_NS6detail17trampoline_kernelINS0_14default_configENS1_20scan_config_selectorIjEEZZNS1_9scan_implILNS1_25lookback_scan_determinismE0ELb1ELb1ES3_PjS8_jN6hipcub16HIPCUB_304000_NS3SumEjEEDaPvRmT3_T4_T5_mT6_P12ihipStream_tbENKUlT_T0_E_clISt17integral_constantIbLb0EESP_EEDaSK_SL_EUlSK_E_NS1_11comp_targetILNS1_3genE9ELNS1_11target_archE1100ELNS1_3gpuE3ELNS1_3repE0EEENS1_30default_config_static_selectorELNS0_4arch9wavefront6targetE0EEEvT1_ ; -- Begin function _ZN7rocprim17ROCPRIM_400000_NS6detail17trampoline_kernelINS0_14default_configENS1_20scan_config_selectorIjEEZZNS1_9scan_implILNS1_25lookback_scan_determinismE0ELb1ELb1ES3_PjS8_jN6hipcub16HIPCUB_304000_NS3SumEjEEDaPvRmT3_T4_T5_mT6_P12ihipStream_tbENKUlT_T0_E_clISt17integral_constantIbLb0EESP_EEDaSK_SL_EUlSK_E_NS1_11comp_targetILNS1_3genE9ELNS1_11target_archE1100ELNS1_3gpuE3ELNS1_3repE0EEENS1_30default_config_static_selectorELNS0_4arch9wavefront6targetE0EEEvT1_
	.globl	_ZN7rocprim17ROCPRIM_400000_NS6detail17trampoline_kernelINS0_14default_configENS1_20scan_config_selectorIjEEZZNS1_9scan_implILNS1_25lookback_scan_determinismE0ELb1ELb1ES3_PjS8_jN6hipcub16HIPCUB_304000_NS3SumEjEEDaPvRmT3_T4_T5_mT6_P12ihipStream_tbENKUlT_T0_E_clISt17integral_constantIbLb0EESP_EEDaSK_SL_EUlSK_E_NS1_11comp_targetILNS1_3genE9ELNS1_11target_archE1100ELNS1_3gpuE3ELNS1_3repE0EEENS1_30default_config_static_selectorELNS0_4arch9wavefront6targetE0EEEvT1_
	.p2align	8
	.type	_ZN7rocprim17ROCPRIM_400000_NS6detail17trampoline_kernelINS0_14default_configENS1_20scan_config_selectorIjEEZZNS1_9scan_implILNS1_25lookback_scan_determinismE0ELb1ELb1ES3_PjS8_jN6hipcub16HIPCUB_304000_NS3SumEjEEDaPvRmT3_T4_T5_mT6_P12ihipStream_tbENKUlT_T0_E_clISt17integral_constantIbLb0EESP_EEDaSK_SL_EUlSK_E_NS1_11comp_targetILNS1_3genE9ELNS1_11target_archE1100ELNS1_3gpuE3ELNS1_3repE0EEENS1_30default_config_static_selectorELNS0_4arch9wavefront6targetE0EEEvT1_,@function
_ZN7rocprim17ROCPRIM_400000_NS6detail17trampoline_kernelINS0_14default_configENS1_20scan_config_selectorIjEEZZNS1_9scan_implILNS1_25lookback_scan_determinismE0ELb1ELb1ES3_PjS8_jN6hipcub16HIPCUB_304000_NS3SumEjEEDaPvRmT3_T4_T5_mT6_P12ihipStream_tbENKUlT_T0_E_clISt17integral_constantIbLb0EESP_EEDaSK_SL_EUlSK_E_NS1_11comp_targetILNS1_3genE9ELNS1_11target_archE1100ELNS1_3gpuE3ELNS1_3repE0EEENS1_30default_config_static_selectorELNS0_4arch9wavefront6targetE0EEEvT1_: ; @_ZN7rocprim17ROCPRIM_400000_NS6detail17trampoline_kernelINS0_14default_configENS1_20scan_config_selectorIjEEZZNS1_9scan_implILNS1_25lookback_scan_determinismE0ELb1ELb1ES3_PjS8_jN6hipcub16HIPCUB_304000_NS3SumEjEEDaPvRmT3_T4_T5_mT6_P12ihipStream_tbENKUlT_T0_E_clISt17integral_constantIbLb0EESP_EEDaSK_SL_EUlSK_E_NS1_11comp_targetILNS1_3genE9ELNS1_11target_archE1100ELNS1_3gpuE3ELNS1_3repE0EEENS1_30default_config_static_selectorELNS0_4arch9wavefront6targetE0EEEvT1_
; %bb.0:
	.section	.rodata,"a",@progbits
	.p2align	6, 0x0
	.amdhsa_kernel _ZN7rocprim17ROCPRIM_400000_NS6detail17trampoline_kernelINS0_14default_configENS1_20scan_config_selectorIjEEZZNS1_9scan_implILNS1_25lookback_scan_determinismE0ELb1ELb1ES3_PjS8_jN6hipcub16HIPCUB_304000_NS3SumEjEEDaPvRmT3_T4_T5_mT6_P12ihipStream_tbENKUlT_T0_E_clISt17integral_constantIbLb0EESP_EEDaSK_SL_EUlSK_E_NS1_11comp_targetILNS1_3genE9ELNS1_11target_archE1100ELNS1_3gpuE3ELNS1_3repE0EEENS1_30default_config_static_selectorELNS0_4arch9wavefront6targetE0EEEvT1_
		.amdhsa_group_segment_fixed_size 0
		.amdhsa_private_segment_fixed_size 0
		.amdhsa_kernarg_size 96
		.amdhsa_user_sgpr_count 2
		.amdhsa_user_sgpr_dispatch_ptr 0
		.amdhsa_user_sgpr_queue_ptr 0
		.amdhsa_user_sgpr_kernarg_segment_ptr 1
		.amdhsa_user_sgpr_dispatch_id 0
		.amdhsa_user_sgpr_kernarg_preload_length 0
		.amdhsa_user_sgpr_kernarg_preload_offset 0
		.amdhsa_user_sgpr_private_segment_size 0
		.amdhsa_wavefront_size32 1
		.amdhsa_uses_dynamic_stack 0
		.amdhsa_enable_private_segment 0
		.amdhsa_system_sgpr_workgroup_id_x 1
		.amdhsa_system_sgpr_workgroup_id_y 0
		.amdhsa_system_sgpr_workgroup_id_z 0
		.amdhsa_system_sgpr_workgroup_info 0
		.amdhsa_system_vgpr_workitem_id 0
		.amdhsa_next_free_vgpr 1
		.amdhsa_next_free_sgpr 1
		.amdhsa_named_barrier_count 0
		.amdhsa_reserve_vcc 0
		.amdhsa_float_round_mode_32 0
		.amdhsa_float_round_mode_16_64 0
		.amdhsa_float_denorm_mode_32 3
		.amdhsa_float_denorm_mode_16_64 3
		.amdhsa_fp16_overflow 0
		.amdhsa_memory_ordered 1
		.amdhsa_forward_progress 1
		.amdhsa_inst_pref_size 0
		.amdhsa_round_robin_scheduling 0
		.amdhsa_exception_fp_ieee_invalid_op 0
		.amdhsa_exception_fp_denorm_src 0
		.amdhsa_exception_fp_ieee_div_zero 0
		.amdhsa_exception_fp_ieee_overflow 0
		.amdhsa_exception_fp_ieee_underflow 0
		.amdhsa_exception_fp_ieee_inexact 0
		.amdhsa_exception_int_div_zero 0
	.end_amdhsa_kernel
	.section	.text._ZN7rocprim17ROCPRIM_400000_NS6detail17trampoline_kernelINS0_14default_configENS1_20scan_config_selectorIjEEZZNS1_9scan_implILNS1_25lookback_scan_determinismE0ELb1ELb1ES3_PjS8_jN6hipcub16HIPCUB_304000_NS3SumEjEEDaPvRmT3_T4_T5_mT6_P12ihipStream_tbENKUlT_T0_E_clISt17integral_constantIbLb0EESP_EEDaSK_SL_EUlSK_E_NS1_11comp_targetILNS1_3genE9ELNS1_11target_archE1100ELNS1_3gpuE3ELNS1_3repE0EEENS1_30default_config_static_selectorELNS0_4arch9wavefront6targetE0EEEvT1_,"axG",@progbits,_ZN7rocprim17ROCPRIM_400000_NS6detail17trampoline_kernelINS0_14default_configENS1_20scan_config_selectorIjEEZZNS1_9scan_implILNS1_25lookback_scan_determinismE0ELb1ELb1ES3_PjS8_jN6hipcub16HIPCUB_304000_NS3SumEjEEDaPvRmT3_T4_T5_mT6_P12ihipStream_tbENKUlT_T0_E_clISt17integral_constantIbLb0EESP_EEDaSK_SL_EUlSK_E_NS1_11comp_targetILNS1_3genE9ELNS1_11target_archE1100ELNS1_3gpuE3ELNS1_3repE0EEENS1_30default_config_static_selectorELNS0_4arch9wavefront6targetE0EEEvT1_,comdat
.Lfunc_end9:
	.size	_ZN7rocprim17ROCPRIM_400000_NS6detail17trampoline_kernelINS0_14default_configENS1_20scan_config_selectorIjEEZZNS1_9scan_implILNS1_25lookback_scan_determinismE0ELb1ELb1ES3_PjS8_jN6hipcub16HIPCUB_304000_NS3SumEjEEDaPvRmT3_T4_T5_mT6_P12ihipStream_tbENKUlT_T0_E_clISt17integral_constantIbLb0EESP_EEDaSK_SL_EUlSK_E_NS1_11comp_targetILNS1_3genE9ELNS1_11target_archE1100ELNS1_3gpuE3ELNS1_3repE0EEENS1_30default_config_static_selectorELNS0_4arch9wavefront6targetE0EEEvT1_, .Lfunc_end9-_ZN7rocprim17ROCPRIM_400000_NS6detail17trampoline_kernelINS0_14default_configENS1_20scan_config_selectorIjEEZZNS1_9scan_implILNS1_25lookback_scan_determinismE0ELb1ELb1ES3_PjS8_jN6hipcub16HIPCUB_304000_NS3SumEjEEDaPvRmT3_T4_T5_mT6_P12ihipStream_tbENKUlT_T0_E_clISt17integral_constantIbLb0EESP_EEDaSK_SL_EUlSK_E_NS1_11comp_targetILNS1_3genE9ELNS1_11target_archE1100ELNS1_3gpuE3ELNS1_3repE0EEENS1_30default_config_static_selectorELNS0_4arch9wavefront6targetE0EEEvT1_
                                        ; -- End function
	.set _ZN7rocprim17ROCPRIM_400000_NS6detail17trampoline_kernelINS0_14default_configENS1_20scan_config_selectorIjEEZZNS1_9scan_implILNS1_25lookback_scan_determinismE0ELb1ELb1ES3_PjS8_jN6hipcub16HIPCUB_304000_NS3SumEjEEDaPvRmT3_T4_T5_mT6_P12ihipStream_tbENKUlT_T0_E_clISt17integral_constantIbLb0EESP_EEDaSK_SL_EUlSK_E_NS1_11comp_targetILNS1_3genE9ELNS1_11target_archE1100ELNS1_3gpuE3ELNS1_3repE0EEENS1_30default_config_static_selectorELNS0_4arch9wavefront6targetE0EEEvT1_.num_vgpr, 0
	.set _ZN7rocprim17ROCPRIM_400000_NS6detail17trampoline_kernelINS0_14default_configENS1_20scan_config_selectorIjEEZZNS1_9scan_implILNS1_25lookback_scan_determinismE0ELb1ELb1ES3_PjS8_jN6hipcub16HIPCUB_304000_NS3SumEjEEDaPvRmT3_T4_T5_mT6_P12ihipStream_tbENKUlT_T0_E_clISt17integral_constantIbLb0EESP_EEDaSK_SL_EUlSK_E_NS1_11comp_targetILNS1_3genE9ELNS1_11target_archE1100ELNS1_3gpuE3ELNS1_3repE0EEENS1_30default_config_static_selectorELNS0_4arch9wavefront6targetE0EEEvT1_.num_agpr, 0
	.set _ZN7rocprim17ROCPRIM_400000_NS6detail17trampoline_kernelINS0_14default_configENS1_20scan_config_selectorIjEEZZNS1_9scan_implILNS1_25lookback_scan_determinismE0ELb1ELb1ES3_PjS8_jN6hipcub16HIPCUB_304000_NS3SumEjEEDaPvRmT3_T4_T5_mT6_P12ihipStream_tbENKUlT_T0_E_clISt17integral_constantIbLb0EESP_EEDaSK_SL_EUlSK_E_NS1_11comp_targetILNS1_3genE9ELNS1_11target_archE1100ELNS1_3gpuE3ELNS1_3repE0EEENS1_30default_config_static_selectorELNS0_4arch9wavefront6targetE0EEEvT1_.numbered_sgpr, 0
	.set _ZN7rocprim17ROCPRIM_400000_NS6detail17trampoline_kernelINS0_14default_configENS1_20scan_config_selectorIjEEZZNS1_9scan_implILNS1_25lookback_scan_determinismE0ELb1ELb1ES3_PjS8_jN6hipcub16HIPCUB_304000_NS3SumEjEEDaPvRmT3_T4_T5_mT6_P12ihipStream_tbENKUlT_T0_E_clISt17integral_constantIbLb0EESP_EEDaSK_SL_EUlSK_E_NS1_11comp_targetILNS1_3genE9ELNS1_11target_archE1100ELNS1_3gpuE3ELNS1_3repE0EEENS1_30default_config_static_selectorELNS0_4arch9wavefront6targetE0EEEvT1_.num_named_barrier, 0
	.set _ZN7rocprim17ROCPRIM_400000_NS6detail17trampoline_kernelINS0_14default_configENS1_20scan_config_selectorIjEEZZNS1_9scan_implILNS1_25lookback_scan_determinismE0ELb1ELb1ES3_PjS8_jN6hipcub16HIPCUB_304000_NS3SumEjEEDaPvRmT3_T4_T5_mT6_P12ihipStream_tbENKUlT_T0_E_clISt17integral_constantIbLb0EESP_EEDaSK_SL_EUlSK_E_NS1_11comp_targetILNS1_3genE9ELNS1_11target_archE1100ELNS1_3gpuE3ELNS1_3repE0EEENS1_30default_config_static_selectorELNS0_4arch9wavefront6targetE0EEEvT1_.private_seg_size, 0
	.set _ZN7rocprim17ROCPRIM_400000_NS6detail17trampoline_kernelINS0_14default_configENS1_20scan_config_selectorIjEEZZNS1_9scan_implILNS1_25lookback_scan_determinismE0ELb1ELb1ES3_PjS8_jN6hipcub16HIPCUB_304000_NS3SumEjEEDaPvRmT3_T4_T5_mT6_P12ihipStream_tbENKUlT_T0_E_clISt17integral_constantIbLb0EESP_EEDaSK_SL_EUlSK_E_NS1_11comp_targetILNS1_3genE9ELNS1_11target_archE1100ELNS1_3gpuE3ELNS1_3repE0EEENS1_30default_config_static_selectorELNS0_4arch9wavefront6targetE0EEEvT1_.uses_vcc, 0
	.set _ZN7rocprim17ROCPRIM_400000_NS6detail17trampoline_kernelINS0_14default_configENS1_20scan_config_selectorIjEEZZNS1_9scan_implILNS1_25lookback_scan_determinismE0ELb1ELb1ES3_PjS8_jN6hipcub16HIPCUB_304000_NS3SumEjEEDaPvRmT3_T4_T5_mT6_P12ihipStream_tbENKUlT_T0_E_clISt17integral_constantIbLb0EESP_EEDaSK_SL_EUlSK_E_NS1_11comp_targetILNS1_3genE9ELNS1_11target_archE1100ELNS1_3gpuE3ELNS1_3repE0EEENS1_30default_config_static_selectorELNS0_4arch9wavefront6targetE0EEEvT1_.uses_flat_scratch, 0
	.set _ZN7rocprim17ROCPRIM_400000_NS6detail17trampoline_kernelINS0_14default_configENS1_20scan_config_selectorIjEEZZNS1_9scan_implILNS1_25lookback_scan_determinismE0ELb1ELb1ES3_PjS8_jN6hipcub16HIPCUB_304000_NS3SumEjEEDaPvRmT3_T4_T5_mT6_P12ihipStream_tbENKUlT_T0_E_clISt17integral_constantIbLb0EESP_EEDaSK_SL_EUlSK_E_NS1_11comp_targetILNS1_3genE9ELNS1_11target_archE1100ELNS1_3gpuE3ELNS1_3repE0EEENS1_30default_config_static_selectorELNS0_4arch9wavefront6targetE0EEEvT1_.has_dyn_sized_stack, 0
	.set _ZN7rocprim17ROCPRIM_400000_NS6detail17trampoline_kernelINS0_14default_configENS1_20scan_config_selectorIjEEZZNS1_9scan_implILNS1_25lookback_scan_determinismE0ELb1ELb1ES3_PjS8_jN6hipcub16HIPCUB_304000_NS3SumEjEEDaPvRmT3_T4_T5_mT6_P12ihipStream_tbENKUlT_T0_E_clISt17integral_constantIbLb0EESP_EEDaSK_SL_EUlSK_E_NS1_11comp_targetILNS1_3genE9ELNS1_11target_archE1100ELNS1_3gpuE3ELNS1_3repE0EEENS1_30default_config_static_selectorELNS0_4arch9wavefront6targetE0EEEvT1_.has_recursion, 0
	.set _ZN7rocprim17ROCPRIM_400000_NS6detail17trampoline_kernelINS0_14default_configENS1_20scan_config_selectorIjEEZZNS1_9scan_implILNS1_25lookback_scan_determinismE0ELb1ELb1ES3_PjS8_jN6hipcub16HIPCUB_304000_NS3SumEjEEDaPvRmT3_T4_T5_mT6_P12ihipStream_tbENKUlT_T0_E_clISt17integral_constantIbLb0EESP_EEDaSK_SL_EUlSK_E_NS1_11comp_targetILNS1_3genE9ELNS1_11target_archE1100ELNS1_3gpuE3ELNS1_3repE0EEENS1_30default_config_static_selectorELNS0_4arch9wavefront6targetE0EEEvT1_.has_indirect_call, 0
	.section	.AMDGPU.csdata,"",@progbits
; Kernel info:
; codeLenInByte = 0
; TotalNumSgprs: 0
; NumVgprs: 0
; ScratchSize: 0
; MemoryBound: 0
; FloatMode: 240
; IeeeMode: 1
; LDSByteSize: 0 bytes/workgroup (compile time only)
; SGPRBlocks: 0
; VGPRBlocks: 0
; NumSGPRsForWavesPerEU: 1
; NumVGPRsForWavesPerEU: 1
; NamedBarCnt: 0
; Occupancy: 16
; WaveLimiterHint : 0
; COMPUTE_PGM_RSRC2:SCRATCH_EN: 0
; COMPUTE_PGM_RSRC2:USER_SGPR: 2
; COMPUTE_PGM_RSRC2:TRAP_HANDLER: 0
; COMPUTE_PGM_RSRC2:TGID_X_EN: 1
; COMPUTE_PGM_RSRC2:TGID_Y_EN: 0
; COMPUTE_PGM_RSRC2:TGID_Z_EN: 0
; COMPUTE_PGM_RSRC2:TIDIG_COMP_CNT: 0
	.section	.text._ZN7rocprim17ROCPRIM_400000_NS6detail17trampoline_kernelINS0_14default_configENS1_20scan_config_selectorIjEEZZNS1_9scan_implILNS1_25lookback_scan_determinismE0ELb1ELb1ES3_PjS8_jN6hipcub16HIPCUB_304000_NS3SumEjEEDaPvRmT3_T4_T5_mT6_P12ihipStream_tbENKUlT_T0_E_clISt17integral_constantIbLb0EESP_EEDaSK_SL_EUlSK_E_NS1_11comp_targetILNS1_3genE8ELNS1_11target_archE1030ELNS1_3gpuE2ELNS1_3repE0EEENS1_30default_config_static_selectorELNS0_4arch9wavefront6targetE0EEEvT1_,"axG",@progbits,_ZN7rocprim17ROCPRIM_400000_NS6detail17trampoline_kernelINS0_14default_configENS1_20scan_config_selectorIjEEZZNS1_9scan_implILNS1_25lookback_scan_determinismE0ELb1ELb1ES3_PjS8_jN6hipcub16HIPCUB_304000_NS3SumEjEEDaPvRmT3_T4_T5_mT6_P12ihipStream_tbENKUlT_T0_E_clISt17integral_constantIbLb0EESP_EEDaSK_SL_EUlSK_E_NS1_11comp_targetILNS1_3genE8ELNS1_11target_archE1030ELNS1_3gpuE2ELNS1_3repE0EEENS1_30default_config_static_selectorELNS0_4arch9wavefront6targetE0EEEvT1_,comdat
	.protected	_ZN7rocprim17ROCPRIM_400000_NS6detail17trampoline_kernelINS0_14default_configENS1_20scan_config_selectorIjEEZZNS1_9scan_implILNS1_25lookback_scan_determinismE0ELb1ELb1ES3_PjS8_jN6hipcub16HIPCUB_304000_NS3SumEjEEDaPvRmT3_T4_T5_mT6_P12ihipStream_tbENKUlT_T0_E_clISt17integral_constantIbLb0EESP_EEDaSK_SL_EUlSK_E_NS1_11comp_targetILNS1_3genE8ELNS1_11target_archE1030ELNS1_3gpuE2ELNS1_3repE0EEENS1_30default_config_static_selectorELNS0_4arch9wavefront6targetE0EEEvT1_ ; -- Begin function _ZN7rocprim17ROCPRIM_400000_NS6detail17trampoline_kernelINS0_14default_configENS1_20scan_config_selectorIjEEZZNS1_9scan_implILNS1_25lookback_scan_determinismE0ELb1ELb1ES3_PjS8_jN6hipcub16HIPCUB_304000_NS3SumEjEEDaPvRmT3_T4_T5_mT6_P12ihipStream_tbENKUlT_T0_E_clISt17integral_constantIbLb0EESP_EEDaSK_SL_EUlSK_E_NS1_11comp_targetILNS1_3genE8ELNS1_11target_archE1030ELNS1_3gpuE2ELNS1_3repE0EEENS1_30default_config_static_selectorELNS0_4arch9wavefront6targetE0EEEvT1_
	.globl	_ZN7rocprim17ROCPRIM_400000_NS6detail17trampoline_kernelINS0_14default_configENS1_20scan_config_selectorIjEEZZNS1_9scan_implILNS1_25lookback_scan_determinismE0ELb1ELb1ES3_PjS8_jN6hipcub16HIPCUB_304000_NS3SumEjEEDaPvRmT3_T4_T5_mT6_P12ihipStream_tbENKUlT_T0_E_clISt17integral_constantIbLb0EESP_EEDaSK_SL_EUlSK_E_NS1_11comp_targetILNS1_3genE8ELNS1_11target_archE1030ELNS1_3gpuE2ELNS1_3repE0EEENS1_30default_config_static_selectorELNS0_4arch9wavefront6targetE0EEEvT1_
	.p2align	8
	.type	_ZN7rocprim17ROCPRIM_400000_NS6detail17trampoline_kernelINS0_14default_configENS1_20scan_config_selectorIjEEZZNS1_9scan_implILNS1_25lookback_scan_determinismE0ELb1ELb1ES3_PjS8_jN6hipcub16HIPCUB_304000_NS3SumEjEEDaPvRmT3_T4_T5_mT6_P12ihipStream_tbENKUlT_T0_E_clISt17integral_constantIbLb0EESP_EEDaSK_SL_EUlSK_E_NS1_11comp_targetILNS1_3genE8ELNS1_11target_archE1030ELNS1_3gpuE2ELNS1_3repE0EEENS1_30default_config_static_selectorELNS0_4arch9wavefront6targetE0EEEvT1_,@function
_ZN7rocprim17ROCPRIM_400000_NS6detail17trampoline_kernelINS0_14default_configENS1_20scan_config_selectorIjEEZZNS1_9scan_implILNS1_25lookback_scan_determinismE0ELb1ELb1ES3_PjS8_jN6hipcub16HIPCUB_304000_NS3SumEjEEDaPvRmT3_T4_T5_mT6_P12ihipStream_tbENKUlT_T0_E_clISt17integral_constantIbLb0EESP_EEDaSK_SL_EUlSK_E_NS1_11comp_targetILNS1_3genE8ELNS1_11target_archE1030ELNS1_3gpuE2ELNS1_3repE0EEENS1_30default_config_static_selectorELNS0_4arch9wavefront6targetE0EEEvT1_: ; @_ZN7rocprim17ROCPRIM_400000_NS6detail17trampoline_kernelINS0_14default_configENS1_20scan_config_selectorIjEEZZNS1_9scan_implILNS1_25lookback_scan_determinismE0ELb1ELb1ES3_PjS8_jN6hipcub16HIPCUB_304000_NS3SumEjEEDaPvRmT3_T4_T5_mT6_P12ihipStream_tbENKUlT_T0_E_clISt17integral_constantIbLb0EESP_EEDaSK_SL_EUlSK_E_NS1_11comp_targetILNS1_3genE8ELNS1_11target_archE1030ELNS1_3gpuE2ELNS1_3repE0EEENS1_30default_config_static_selectorELNS0_4arch9wavefront6targetE0EEEvT1_
; %bb.0:
	.section	.rodata,"a",@progbits
	.p2align	6, 0x0
	.amdhsa_kernel _ZN7rocprim17ROCPRIM_400000_NS6detail17trampoline_kernelINS0_14default_configENS1_20scan_config_selectorIjEEZZNS1_9scan_implILNS1_25lookback_scan_determinismE0ELb1ELb1ES3_PjS8_jN6hipcub16HIPCUB_304000_NS3SumEjEEDaPvRmT3_T4_T5_mT6_P12ihipStream_tbENKUlT_T0_E_clISt17integral_constantIbLb0EESP_EEDaSK_SL_EUlSK_E_NS1_11comp_targetILNS1_3genE8ELNS1_11target_archE1030ELNS1_3gpuE2ELNS1_3repE0EEENS1_30default_config_static_selectorELNS0_4arch9wavefront6targetE0EEEvT1_
		.amdhsa_group_segment_fixed_size 0
		.amdhsa_private_segment_fixed_size 0
		.amdhsa_kernarg_size 96
		.amdhsa_user_sgpr_count 2
		.amdhsa_user_sgpr_dispatch_ptr 0
		.amdhsa_user_sgpr_queue_ptr 0
		.amdhsa_user_sgpr_kernarg_segment_ptr 1
		.amdhsa_user_sgpr_dispatch_id 0
		.amdhsa_user_sgpr_kernarg_preload_length 0
		.amdhsa_user_sgpr_kernarg_preload_offset 0
		.amdhsa_user_sgpr_private_segment_size 0
		.amdhsa_wavefront_size32 1
		.amdhsa_uses_dynamic_stack 0
		.amdhsa_enable_private_segment 0
		.amdhsa_system_sgpr_workgroup_id_x 1
		.amdhsa_system_sgpr_workgroup_id_y 0
		.amdhsa_system_sgpr_workgroup_id_z 0
		.amdhsa_system_sgpr_workgroup_info 0
		.amdhsa_system_vgpr_workitem_id 0
		.amdhsa_next_free_vgpr 1
		.amdhsa_next_free_sgpr 1
		.amdhsa_named_barrier_count 0
		.amdhsa_reserve_vcc 0
		.amdhsa_float_round_mode_32 0
		.amdhsa_float_round_mode_16_64 0
		.amdhsa_float_denorm_mode_32 3
		.amdhsa_float_denorm_mode_16_64 3
		.amdhsa_fp16_overflow 0
		.amdhsa_memory_ordered 1
		.amdhsa_forward_progress 1
		.amdhsa_inst_pref_size 0
		.amdhsa_round_robin_scheduling 0
		.amdhsa_exception_fp_ieee_invalid_op 0
		.amdhsa_exception_fp_denorm_src 0
		.amdhsa_exception_fp_ieee_div_zero 0
		.amdhsa_exception_fp_ieee_overflow 0
		.amdhsa_exception_fp_ieee_underflow 0
		.amdhsa_exception_fp_ieee_inexact 0
		.amdhsa_exception_int_div_zero 0
	.end_amdhsa_kernel
	.section	.text._ZN7rocprim17ROCPRIM_400000_NS6detail17trampoline_kernelINS0_14default_configENS1_20scan_config_selectorIjEEZZNS1_9scan_implILNS1_25lookback_scan_determinismE0ELb1ELb1ES3_PjS8_jN6hipcub16HIPCUB_304000_NS3SumEjEEDaPvRmT3_T4_T5_mT6_P12ihipStream_tbENKUlT_T0_E_clISt17integral_constantIbLb0EESP_EEDaSK_SL_EUlSK_E_NS1_11comp_targetILNS1_3genE8ELNS1_11target_archE1030ELNS1_3gpuE2ELNS1_3repE0EEENS1_30default_config_static_selectorELNS0_4arch9wavefront6targetE0EEEvT1_,"axG",@progbits,_ZN7rocprim17ROCPRIM_400000_NS6detail17trampoline_kernelINS0_14default_configENS1_20scan_config_selectorIjEEZZNS1_9scan_implILNS1_25lookback_scan_determinismE0ELb1ELb1ES3_PjS8_jN6hipcub16HIPCUB_304000_NS3SumEjEEDaPvRmT3_T4_T5_mT6_P12ihipStream_tbENKUlT_T0_E_clISt17integral_constantIbLb0EESP_EEDaSK_SL_EUlSK_E_NS1_11comp_targetILNS1_3genE8ELNS1_11target_archE1030ELNS1_3gpuE2ELNS1_3repE0EEENS1_30default_config_static_selectorELNS0_4arch9wavefront6targetE0EEEvT1_,comdat
.Lfunc_end10:
	.size	_ZN7rocprim17ROCPRIM_400000_NS6detail17trampoline_kernelINS0_14default_configENS1_20scan_config_selectorIjEEZZNS1_9scan_implILNS1_25lookback_scan_determinismE0ELb1ELb1ES3_PjS8_jN6hipcub16HIPCUB_304000_NS3SumEjEEDaPvRmT3_T4_T5_mT6_P12ihipStream_tbENKUlT_T0_E_clISt17integral_constantIbLb0EESP_EEDaSK_SL_EUlSK_E_NS1_11comp_targetILNS1_3genE8ELNS1_11target_archE1030ELNS1_3gpuE2ELNS1_3repE0EEENS1_30default_config_static_selectorELNS0_4arch9wavefront6targetE0EEEvT1_, .Lfunc_end10-_ZN7rocprim17ROCPRIM_400000_NS6detail17trampoline_kernelINS0_14default_configENS1_20scan_config_selectorIjEEZZNS1_9scan_implILNS1_25lookback_scan_determinismE0ELb1ELb1ES3_PjS8_jN6hipcub16HIPCUB_304000_NS3SumEjEEDaPvRmT3_T4_T5_mT6_P12ihipStream_tbENKUlT_T0_E_clISt17integral_constantIbLb0EESP_EEDaSK_SL_EUlSK_E_NS1_11comp_targetILNS1_3genE8ELNS1_11target_archE1030ELNS1_3gpuE2ELNS1_3repE0EEENS1_30default_config_static_selectorELNS0_4arch9wavefront6targetE0EEEvT1_
                                        ; -- End function
	.set _ZN7rocprim17ROCPRIM_400000_NS6detail17trampoline_kernelINS0_14default_configENS1_20scan_config_selectorIjEEZZNS1_9scan_implILNS1_25lookback_scan_determinismE0ELb1ELb1ES3_PjS8_jN6hipcub16HIPCUB_304000_NS3SumEjEEDaPvRmT3_T4_T5_mT6_P12ihipStream_tbENKUlT_T0_E_clISt17integral_constantIbLb0EESP_EEDaSK_SL_EUlSK_E_NS1_11comp_targetILNS1_3genE8ELNS1_11target_archE1030ELNS1_3gpuE2ELNS1_3repE0EEENS1_30default_config_static_selectorELNS0_4arch9wavefront6targetE0EEEvT1_.num_vgpr, 0
	.set _ZN7rocprim17ROCPRIM_400000_NS6detail17trampoline_kernelINS0_14default_configENS1_20scan_config_selectorIjEEZZNS1_9scan_implILNS1_25lookback_scan_determinismE0ELb1ELb1ES3_PjS8_jN6hipcub16HIPCUB_304000_NS3SumEjEEDaPvRmT3_T4_T5_mT6_P12ihipStream_tbENKUlT_T0_E_clISt17integral_constantIbLb0EESP_EEDaSK_SL_EUlSK_E_NS1_11comp_targetILNS1_3genE8ELNS1_11target_archE1030ELNS1_3gpuE2ELNS1_3repE0EEENS1_30default_config_static_selectorELNS0_4arch9wavefront6targetE0EEEvT1_.num_agpr, 0
	.set _ZN7rocprim17ROCPRIM_400000_NS6detail17trampoline_kernelINS0_14default_configENS1_20scan_config_selectorIjEEZZNS1_9scan_implILNS1_25lookback_scan_determinismE0ELb1ELb1ES3_PjS8_jN6hipcub16HIPCUB_304000_NS3SumEjEEDaPvRmT3_T4_T5_mT6_P12ihipStream_tbENKUlT_T0_E_clISt17integral_constantIbLb0EESP_EEDaSK_SL_EUlSK_E_NS1_11comp_targetILNS1_3genE8ELNS1_11target_archE1030ELNS1_3gpuE2ELNS1_3repE0EEENS1_30default_config_static_selectorELNS0_4arch9wavefront6targetE0EEEvT1_.numbered_sgpr, 0
	.set _ZN7rocprim17ROCPRIM_400000_NS6detail17trampoline_kernelINS0_14default_configENS1_20scan_config_selectorIjEEZZNS1_9scan_implILNS1_25lookback_scan_determinismE0ELb1ELb1ES3_PjS8_jN6hipcub16HIPCUB_304000_NS3SumEjEEDaPvRmT3_T4_T5_mT6_P12ihipStream_tbENKUlT_T0_E_clISt17integral_constantIbLb0EESP_EEDaSK_SL_EUlSK_E_NS1_11comp_targetILNS1_3genE8ELNS1_11target_archE1030ELNS1_3gpuE2ELNS1_3repE0EEENS1_30default_config_static_selectorELNS0_4arch9wavefront6targetE0EEEvT1_.num_named_barrier, 0
	.set _ZN7rocprim17ROCPRIM_400000_NS6detail17trampoline_kernelINS0_14default_configENS1_20scan_config_selectorIjEEZZNS1_9scan_implILNS1_25lookback_scan_determinismE0ELb1ELb1ES3_PjS8_jN6hipcub16HIPCUB_304000_NS3SumEjEEDaPvRmT3_T4_T5_mT6_P12ihipStream_tbENKUlT_T0_E_clISt17integral_constantIbLb0EESP_EEDaSK_SL_EUlSK_E_NS1_11comp_targetILNS1_3genE8ELNS1_11target_archE1030ELNS1_3gpuE2ELNS1_3repE0EEENS1_30default_config_static_selectorELNS0_4arch9wavefront6targetE0EEEvT1_.private_seg_size, 0
	.set _ZN7rocprim17ROCPRIM_400000_NS6detail17trampoline_kernelINS0_14default_configENS1_20scan_config_selectorIjEEZZNS1_9scan_implILNS1_25lookback_scan_determinismE0ELb1ELb1ES3_PjS8_jN6hipcub16HIPCUB_304000_NS3SumEjEEDaPvRmT3_T4_T5_mT6_P12ihipStream_tbENKUlT_T0_E_clISt17integral_constantIbLb0EESP_EEDaSK_SL_EUlSK_E_NS1_11comp_targetILNS1_3genE8ELNS1_11target_archE1030ELNS1_3gpuE2ELNS1_3repE0EEENS1_30default_config_static_selectorELNS0_4arch9wavefront6targetE0EEEvT1_.uses_vcc, 0
	.set _ZN7rocprim17ROCPRIM_400000_NS6detail17trampoline_kernelINS0_14default_configENS1_20scan_config_selectorIjEEZZNS1_9scan_implILNS1_25lookback_scan_determinismE0ELb1ELb1ES3_PjS8_jN6hipcub16HIPCUB_304000_NS3SumEjEEDaPvRmT3_T4_T5_mT6_P12ihipStream_tbENKUlT_T0_E_clISt17integral_constantIbLb0EESP_EEDaSK_SL_EUlSK_E_NS1_11comp_targetILNS1_3genE8ELNS1_11target_archE1030ELNS1_3gpuE2ELNS1_3repE0EEENS1_30default_config_static_selectorELNS0_4arch9wavefront6targetE0EEEvT1_.uses_flat_scratch, 0
	.set _ZN7rocprim17ROCPRIM_400000_NS6detail17trampoline_kernelINS0_14default_configENS1_20scan_config_selectorIjEEZZNS1_9scan_implILNS1_25lookback_scan_determinismE0ELb1ELb1ES3_PjS8_jN6hipcub16HIPCUB_304000_NS3SumEjEEDaPvRmT3_T4_T5_mT6_P12ihipStream_tbENKUlT_T0_E_clISt17integral_constantIbLb0EESP_EEDaSK_SL_EUlSK_E_NS1_11comp_targetILNS1_3genE8ELNS1_11target_archE1030ELNS1_3gpuE2ELNS1_3repE0EEENS1_30default_config_static_selectorELNS0_4arch9wavefront6targetE0EEEvT1_.has_dyn_sized_stack, 0
	.set _ZN7rocprim17ROCPRIM_400000_NS6detail17trampoline_kernelINS0_14default_configENS1_20scan_config_selectorIjEEZZNS1_9scan_implILNS1_25lookback_scan_determinismE0ELb1ELb1ES3_PjS8_jN6hipcub16HIPCUB_304000_NS3SumEjEEDaPvRmT3_T4_T5_mT6_P12ihipStream_tbENKUlT_T0_E_clISt17integral_constantIbLb0EESP_EEDaSK_SL_EUlSK_E_NS1_11comp_targetILNS1_3genE8ELNS1_11target_archE1030ELNS1_3gpuE2ELNS1_3repE0EEENS1_30default_config_static_selectorELNS0_4arch9wavefront6targetE0EEEvT1_.has_recursion, 0
	.set _ZN7rocprim17ROCPRIM_400000_NS6detail17trampoline_kernelINS0_14default_configENS1_20scan_config_selectorIjEEZZNS1_9scan_implILNS1_25lookback_scan_determinismE0ELb1ELb1ES3_PjS8_jN6hipcub16HIPCUB_304000_NS3SumEjEEDaPvRmT3_T4_T5_mT6_P12ihipStream_tbENKUlT_T0_E_clISt17integral_constantIbLb0EESP_EEDaSK_SL_EUlSK_E_NS1_11comp_targetILNS1_3genE8ELNS1_11target_archE1030ELNS1_3gpuE2ELNS1_3repE0EEENS1_30default_config_static_selectorELNS0_4arch9wavefront6targetE0EEEvT1_.has_indirect_call, 0
	.section	.AMDGPU.csdata,"",@progbits
; Kernel info:
; codeLenInByte = 0
; TotalNumSgprs: 0
; NumVgprs: 0
; ScratchSize: 0
; MemoryBound: 0
; FloatMode: 240
; IeeeMode: 1
; LDSByteSize: 0 bytes/workgroup (compile time only)
; SGPRBlocks: 0
; VGPRBlocks: 0
; NumSGPRsForWavesPerEU: 1
; NumVGPRsForWavesPerEU: 1
; NamedBarCnt: 0
; Occupancy: 16
; WaveLimiterHint : 0
; COMPUTE_PGM_RSRC2:SCRATCH_EN: 0
; COMPUTE_PGM_RSRC2:USER_SGPR: 2
; COMPUTE_PGM_RSRC2:TRAP_HANDLER: 0
; COMPUTE_PGM_RSRC2:TGID_X_EN: 1
; COMPUTE_PGM_RSRC2:TGID_Y_EN: 0
; COMPUTE_PGM_RSRC2:TGID_Z_EN: 0
; COMPUTE_PGM_RSRC2:TIDIG_COMP_CNT: 0
	.section	.text._ZN7rocprim17ROCPRIM_400000_NS6detail17trampoline_kernelINS0_14default_configENS1_25transform_config_selectorIjLb1EEEZNS1_14transform_implILb1ES3_S5_PjS7_NS0_8identityIjEEEE10hipError_tT2_T3_mT4_P12ihipStream_tbEUlT_E_NS1_11comp_targetILNS1_3genE0ELNS1_11target_archE4294967295ELNS1_3gpuE0ELNS1_3repE0EEENS1_30default_config_static_selectorELNS0_4arch9wavefront6targetE0EEEvT1_,"axG",@progbits,_ZN7rocprim17ROCPRIM_400000_NS6detail17trampoline_kernelINS0_14default_configENS1_25transform_config_selectorIjLb1EEEZNS1_14transform_implILb1ES3_S5_PjS7_NS0_8identityIjEEEE10hipError_tT2_T3_mT4_P12ihipStream_tbEUlT_E_NS1_11comp_targetILNS1_3genE0ELNS1_11target_archE4294967295ELNS1_3gpuE0ELNS1_3repE0EEENS1_30default_config_static_selectorELNS0_4arch9wavefront6targetE0EEEvT1_,comdat
	.protected	_ZN7rocprim17ROCPRIM_400000_NS6detail17trampoline_kernelINS0_14default_configENS1_25transform_config_selectorIjLb1EEEZNS1_14transform_implILb1ES3_S5_PjS7_NS0_8identityIjEEEE10hipError_tT2_T3_mT4_P12ihipStream_tbEUlT_E_NS1_11comp_targetILNS1_3genE0ELNS1_11target_archE4294967295ELNS1_3gpuE0ELNS1_3repE0EEENS1_30default_config_static_selectorELNS0_4arch9wavefront6targetE0EEEvT1_ ; -- Begin function _ZN7rocprim17ROCPRIM_400000_NS6detail17trampoline_kernelINS0_14default_configENS1_25transform_config_selectorIjLb1EEEZNS1_14transform_implILb1ES3_S5_PjS7_NS0_8identityIjEEEE10hipError_tT2_T3_mT4_P12ihipStream_tbEUlT_E_NS1_11comp_targetILNS1_3genE0ELNS1_11target_archE4294967295ELNS1_3gpuE0ELNS1_3repE0EEENS1_30default_config_static_selectorELNS0_4arch9wavefront6targetE0EEEvT1_
	.globl	_ZN7rocprim17ROCPRIM_400000_NS6detail17trampoline_kernelINS0_14default_configENS1_25transform_config_selectorIjLb1EEEZNS1_14transform_implILb1ES3_S5_PjS7_NS0_8identityIjEEEE10hipError_tT2_T3_mT4_P12ihipStream_tbEUlT_E_NS1_11comp_targetILNS1_3genE0ELNS1_11target_archE4294967295ELNS1_3gpuE0ELNS1_3repE0EEENS1_30default_config_static_selectorELNS0_4arch9wavefront6targetE0EEEvT1_
	.p2align	8
	.type	_ZN7rocprim17ROCPRIM_400000_NS6detail17trampoline_kernelINS0_14default_configENS1_25transform_config_selectorIjLb1EEEZNS1_14transform_implILb1ES3_S5_PjS7_NS0_8identityIjEEEE10hipError_tT2_T3_mT4_P12ihipStream_tbEUlT_E_NS1_11comp_targetILNS1_3genE0ELNS1_11target_archE4294967295ELNS1_3gpuE0ELNS1_3repE0EEENS1_30default_config_static_selectorELNS0_4arch9wavefront6targetE0EEEvT1_,@function
_ZN7rocprim17ROCPRIM_400000_NS6detail17trampoline_kernelINS0_14default_configENS1_25transform_config_selectorIjLb1EEEZNS1_14transform_implILb1ES3_S5_PjS7_NS0_8identityIjEEEE10hipError_tT2_T3_mT4_P12ihipStream_tbEUlT_E_NS1_11comp_targetILNS1_3genE0ELNS1_11target_archE4294967295ELNS1_3gpuE0ELNS1_3repE0EEENS1_30default_config_static_selectorELNS0_4arch9wavefront6targetE0EEEvT1_: ; @_ZN7rocprim17ROCPRIM_400000_NS6detail17trampoline_kernelINS0_14default_configENS1_25transform_config_selectorIjLb1EEEZNS1_14transform_implILb1ES3_S5_PjS7_NS0_8identityIjEEEE10hipError_tT2_T3_mT4_P12ihipStream_tbEUlT_E_NS1_11comp_targetILNS1_3genE0ELNS1_11target_archE4294967295ELNS1_3gpuE0ELNS1_3repE0EEENS1_30default_config_static_selectorELNS0_4arch9wavefront6targetE0EEEvT1_
; %bb.0:
	s_clause 0x1
	s_load_b256 s[4:11], s[0:1], 0x0
	s_load_b32 s12, s[0:1], 0x28
	s_wait_xcnt 0x0
	s_bfe_u32 s0, ttmp6, 0x4000c
	s_and_b32 s2, ttmp6, 15
	s_add_co_i32 s0, s0, 1
	s_wait_kmcnt 0x0
	s_getreg_b32 s9, hwreg(HW_REG_IB_STS2, 6, 4)
	s_mul_i32 s0, ttmp9, s0
	s_mov_b32 s1, 0
	s_add_co_i32 s0, s2, s0
	s_lshl_b64 s[2:3], s[6:7], 2
	s_cmp_eq_u32 s9, 0
	s_add_nc_u64 s[6:7], s[4:5], s[2:3]
	s_cselect_b32 s13, ttmp9, s0
	s_add_co_i32 s12, s12, -1
	s_lshl_b32 s0, s13, 8
	s_add_nc_u64 s[2:3], s[10:11], s[2:3]
	s_lshl_b64 s[4:5], s[0:1], 2
	s_mov_b32 s9, -1
	s_cmp_lg_u32 s13, s12
	s_add_nc_u64 s[6:7], s[6:7], s[4:5]
	s_cbranch_scc0 .LBB11_2
; %bb.1:
	global_load_b64 v[2:3], v0, s[6:7] scale_offset
	s_add_nc_u64 s[10:11], s[2:3], s[4:5]
	s_mov_b32 s9, 0
	s_wait_loadcnt 0x0
	global_store_b64 v0, v[2:3], s[10:11] scale_offset
.LBB11_2:
	s_and_not1_b32 vcc_lo, exec_lo, s9
	s_cbranch_vccnz .LBB11_11
; %bb.3:
	s_sub_co_i32 s1, s8, s0
	s_wait_xcnt 0x0
	v_mov_b64_e32 v[2:3], 0
	v_cmp_gt_u32_e32 vcc_lo, s1, v0
	s_and_saveexec_b32 s0, vcc_lo
	s_cbranch_execz .LBB11_5
; %bb.4:
	global_load_b32 v2, v0, s[6:7] scale_offset
	v_mov_b32_e32 v3, 0
.LBB11_5:
	s_wait_xcnt 0x0
	s_or_b32 exec_lo, exec_lo, s0
	v_or_b32_e32 v1, 0x80, v0
	s_delay_alu instid0(VALU_DEP_1) | instskip(SKIP_2) | instid1(SALU_CYCLE_1)
	v_cmp_gt_u32_e64 s0, s1, v1
	v_cmp_le_u32_e64 s1, s1, v1
	s_and_saveexec_b32 s8, s1
	s_xor_b32 s1, exec_lo, s8
	s_delay_alu instid0(SALU_CYCLE_1)
	s_and_not1_saveexec_b32 s1, s1
	s_cbranch_execz .LBB11_7
; %bb.6:
	global_load_b32 v3, v0, s[6:7] offset:512 scale_offset
.LBB11_7:
	s_wait_xcnt 0x0
	s_or_b32 exec_lo, exec_lo, s1
	v_dual_mov_b32 v1, 0 :: v_dual_lshlrev_b32 v0, 2, v0
	s_add_nc_u64 s[2:3], s[2:3], s[4:5]
	s_wait_loadcnt 0x0
	v_cndmask_b32_e32 v2, 0, v2, vcc_lo
	s_delay_alu instid0(VALU_DEP_2)
	v_add_nc_u64_e32 v[0:1], s[2:3], v[0:1]
	s_and_saveexec_b32 s1, vcc_lo
	s_cbranch_execz .LBB11_9
; %bb.8:
	global_store_b32 v[0:1], v2, off
.LBB11_9:
	s_wait_xcnt 0x0
	s_or_b32 exec_lo, exec_lo, s1
	s_and_saveexec_b32 s1, s0
	s_cbranch_execz .LBB11_11
; %bb.10:
	v_cndmask_b32_e64 v2, 0, v3, s0
	global_store_b32 v[0:1], v2, off offset:512
.LBB11_11:
	s_endpgm
	.section	.rodata,"a",@progbits
	.p2align	6, 0x0
	.amdhsa_kernel _ZN7rocprim17ROCPRIM_400000_NS6detail17trampoline_kernelINS0_14default_configENS1_25transform_config_selectorIjLb1EEEZNS1_14transform_implILb1ES3_S5_PjS7_NS0_8identityIjEEEE10hipError_tT2_T3_mT4_P12ihipStream_tbEUlT_E_NS1_11comp_targetILNS1_3genE0ELNS1_11target_archE4294967295ELNS1_3gpuE0ELNS1_3repE0EEENS1_30default_config_static_selectorELNS0_4arch9wavefront6targetE0EEEvT1_
		.amdhsa_group_segment_fixed_size 0
		.amdhsa_private_segment_fixed_size 0
		.amdhsa_kernarg_size 296
		.amdhsa_user_sgpr_count 2
		.amdhsa_user_sgpr_dispatch_ptr 0
		.amdhsa_user_sgpr_queue_ptr 0
		.amdhsa_user_sgpr_kernarg_segment_ptr 1
		.amdhsa_user_sgpr_dispatch_id 0
		.amdhsa_user_sgpr_kernarg_preload_length 0
		.amdhsa_user_sgpr_kernarg_preload_offset 0
		.amdhsa_user_sgpr_private_segment_size 0
		.amdhsa_wavefront_size32 1
		.amdhsa_uses_dynamic_stack 0
		.amdhsa_enable_private_segment 0
		.amdhsa_system_sgpr_workgroup_id_x 1
		.amdhsa_system_sgpr_workgroup_id_y 0
		.amdhsa_system_sgpr_workgroup_id_z 0
		.amdhsa_system_sgpr_workgroup_info 0
		.amdhsa_system_vgpr_workitem_id 0
		.amdhsa_next_free_vgpr 4
		.amdhsa_next_free_sgpr 14
		.amdhsa_named_barrier_count 0
		.amdhsa_reserve_vcc 1
		.amdhsa_float_round_mode_32 0
		.amdhsa_float_round_mode_16_64 0
		.amdhsa_float_denorm_mode_32 3
		.amdhsa_float_denorm_mode_16_64 3
		.amdhsa_fp16_overflow 0
		.amdhsa_memory_ordered 1
		.amdhsa_forward_progress 1
		.amdhsa_inst_pref_size 3
		.amdhsa_round_robin_scheduling 0
		.amdhsa_exception_fp_ieee_invalid_op 0
		.amdhsa_exception_fp_denorm_src 0
		.amdhsa_exception_fp_ieee_div_zero 0
		.amdhsa_exception_fp_ieee_overflow 0
		.amdhsa_exception_fp_ieee_underflow 0
		.amdhsa_exception_fp_ieee_inexact 0
		.amdhsa_exception_int_div_zero 0
	.end_amdhsa_kernel
	.section	.text._ZN7rocprim17ROCPRIM_400000_NS6detail17trampoline_kernelINS0_14default_configENS1_25transform_config_selectorIjLb1EEEZNS1_14transform_implILb1ES3_S5_PjS7_NS0_8identityIjEEEE10hipError_tT2_T3_mT4_P12ihipStream_tbEUlT_E_NS1_11comp_targetILNS1_3genE0ELNS1_11target_archE4294967295ELNS1_3gpuE0ELNS1_3repE0EEENS1_30default_config_static_selectorELNS0_4arch9wavefront6targetE0EEEvT1_,"axG",@progbits,_ZN7rocprim17ROCPRIM_400000_NS6detail17trampoline_kernelINS0_14default_configENS1_25transform_config_selectorIjLb1EEEZNS1_14transform_implILb1ES3_S5_PjS7_NS0_8identityIjEEEE10hipError_tT2_T3_mT4_P12ihipStream_tbEUlT_E_NS1_11comp_targetILNS1_3genE0ELNS1_11target_archE4294967295ELNS1_3gpuE0ELNS1_3repE0EEENS1_30default_config_static_selectorELNS0_4arch9wavefront6targetE0EEEvT1_,comdat
.Lfunc_end11:
	.size	_ZN7rocprim17ROCPRIM_400000_NS6detail17trampoline_kernelINS0_14default_configENS1_25transform_config_selectorIjLb1EEEZNS1_14transform_implILb1ES3_S5_PjS7_NS0_8identityIjEEEE10hipError_tT2_T3_mT4_P12ihipStream_tbEUlT_E_NS1_11comp_targetILNS1_3genE0ELNS1_11target_archE4294967295ELNS1_3gpuE0ELNS1_3repE0EEENS1_30default_config_static_selectorELNS0_4arch9wavefront6targetE0EEEvT1_, .Lfunc_end11-_ZN7rocprim17ROCPRIM_400000_NS6detail17trampoline_kernelINS0_14default_configENS1_25transform_config_selectorIjLb1EEEZNS1_14transform_implILb1ES3_S5_PjS7_NS0_8identityIjEEEE10hipError_tT2_T3_mT4_P12ihipStream_tbEUlT_E_NS1_11comp_targetILNS1_3genE0ELNS1_11target_archE4294967295ELNS1_3gpuE0ELNS1_3repE0EEENS1_30default_config_static_selectorELNS0_4arch9wavefront6targetE0EEEvT1_
                                        ; -- End function
	.set _ZN7rocprim17ROCPRIM_400000_NS6detail17trampoline_kernelINS0_14default_configENS1_25transform_config_selectorIjLb1EEEZNS1_14transform_implILb1ES3_S5_PjS7_NS0_8identityIjEEEE10hipError_tT2_T3_mT4_P12ihipStream_tbEUlT_E_NS1_11comp_targetILNS1_3genE0ELNS1_11target_archE4294967295ELNS1_3gpuE0ELNS1_3repE0EEENS1_30default_config_static_selectorELNS0_4arch9wavefront6targetE0EEEvT1_.num_vgpr, 4
	.set _ZN7rocprim17ROCPRIM_400000_NS6detail17trampoline_kernelINS0_14default_configENS1_25transform_config_selectorIjLb1EEEZNS1_14transform_implILb1ES3_S5_PjS7_NS0_8identityIjEEEE10hipError_tT2_T3_mT4_P12ihipStream_tbEUlT_E_NS1_11comp_targetILNS1_3genE0ELNS1_11target_archE4294967295ELNS1_3gpuE0ELNS1_3repE0EEENS1_30default_config_static_selectorELNS0_4arch9wavefront6targetE0EEEvT1_.num_agpr, 0
	.set _ZN7rocprim17ROCPRIM_400000_NS6detail17trampoline_kernelINS0_14default_configENS1_25transform_config_selectorIjLb1EEEZNS1_14transform_implILb1ES3_S5_PjS7_NS0_8identityIjEEEE10hipError_tT2_T3_mT4_P12ihipStream_tbEUlT_E_NS1_11comp_targetILNS1_3genE0ELNS1_11target_archE4294967295ELNS1_3gpuE0ELNS1_3repE0EEENS1_30default_config_static_selectorELNS0_4arch9wavefront6targetE0EEEvT1_.numbered_sgpr, 14
	.set _ZN7rocprim17ROCPRIM_400000_NS6detail17trampoline_kernelINS0_14default_configENS1_25transform_config_selectorIjLb1EEEZNS1_14transform_implILb1ES3_S5_PjS7_NS0_8identityIjEEEE10hipError_tT2_T3_mT4_P12ihipStream_tbEUlT_E_NS1_11comp_targetILNS1_3genE0ELNS1_11target_archE4294967295ELNS1_3gpuE0ELNS1_3repE0EEENS1_30default_config_static_selectorELNS0_4arch9wavefront6targetE0EEEvT1_.num_named_barrier, 0
	.set _ZN7rocprim17ROCPRIM_400000_NS6detail17trampoline_kernelINS0_14default_configENS1_25transform_config_selectorIjLb1EEEZNS1_14transform_implILb1ES3_S5_PjS7_NS0_8identityIjEEEE10hipError_tT2_T3_mT4_P12ihipStream_tbEUlT_E_NS1_11comp_targetILNS1_3genE0ELNS1_11target_archE4294967295ELNS1_3gpuE0ELNS1_3repE0EEENS1_30default_config_static_selectorELNS0_4arch9wavefront6targetE0EEEvT1_.private_seg_size, 0
	.set _ZN7rocprim17ROCPRIM_400000_NS6detail17trampoline_kernelINS0_14default_configENS1_25transform_config_selectorIjLb1EEEZNS1_14transform_implILb1ES3_S5_PjS7_NS0_8identityIjEEEE10hipError_tT2_T3_mT4_P12ihipStream_tbEUlT_E_NS1_11comp_targetILNS1_3genE0ELNS1_11target_archE4294967295ELNS1_3gpuE0ELNS1_3repE0EEENS1_30default_config_static_selectorELNS0_4arch9wavefront6targetE0EEEvT1_.uses_vcc, 1
	.set _ZN7rocprim17ROCPRIM_400000_NS6detail17trampoline_kernelINS0_14default_configENS1_25transform_config_selectorIjLb1EEEZNS1_14transform_implILb1ES3_S5_PjS7_NS0_8identityIjEEEE10hipError_tT2_T3_mT4_P12ihipStream_tbEUlT_E_NS1_11comp_targetILNS1_3genE0ELNS1_11target_archE4294967295ELNS1_3gpuE0ELNS1_3repE0EEENS1_30default_config_static_selectorELNS0_4arch9wavefront6targetE0EEEvT1_.uses_flat_scratch, 0
	.set _ZN7rocprim17ROCPRIM_400000_NS6detail17trampoline_kernelINS0_14default_configENS1_25transform_config_selectorIjLb1EEEZNS1_14transform_implILb1ES3_S5_PjS7_NS0_8identityIjEEEE10hipError_tT2_T3_mT4_P12ihipStream_tbEUlT_E_NS1_11comp_targetILNS1_3genE0ELNS1_11target_archE4294967295ELNS1_3gpuE0ELNS1_3repE0EEENS1_30default_config_static_selectorELNS0_4arch9wavefront6targetE0EEEvT1_.has_dyn_sized_stack, 0
	.set _ZN7rocprim17ROCPRIM_400000_NS6detail17trampoline_kernelINS0_14default_configENS1_25transform_config_selectorIjLb1EEEZNS1_14transform_implILb1ES3_S5_PjS7_NS0_8identityIjEEEE10hipError_tT2_T3_mT4_P12ihipStream_tbEUlT_E_NS1_11comp_targetILNS1_3genE0ELNS1_11target_archE4294967295ELNS1_3gpuE0ELNS1_3repE0EEENS1_30default_config_static_selectorELNS0_4arch9wavefront6targetE0EEEvT1_.has_recursion, 0
	.set _ZN7rocprim17ROCPRIM_400000_NS6detail17trampoline_kernelINS0_14default_configENS1_25transform_config_selectorIjLb1EEEZNS1_14transform_implILb1ES3_S5_PjS7_NS0_8identityIjEEEE10hipError_tT2_T3_mT4_P12ihipStream_tbEUlT_E_NS1_11comp_targetILNS1_3genE0ELNS1_11target_archE4294967295ELNS1_3gpuE0ELNS1_3repE0EEENS1_30default_config_static_selectorELNS0_4arch9wavefront6targetE0EEEvT1_.has_indirect_call, 0
	.section	.AMDGPU.csdata,"",@progbits
; Kernel info:
; codeLenInByte = 356
; TotalNumSgprs: 16
; NumVgprs: 4
; ScratchSize: 0
; MemoryBound: 0
; FloatMode: 240
; IeeeMode: 1
; LDSByteSize: 0 bytes/workgroup (compile time only)
; SGPRBlocks: 0
; VGPRBlocks: 0
; NumSGPRsForWavesPerEU: 16
; NumVGPRsForWavesPerEU: 4
; NamedBarCnt: 0
; Occupancy: 16
; WaveLimiterHint : 0
; COMPUTE_PGM_RSRC2:SCRATCH_EN: 0
; COMPUTE_PGM_RSRC2:USER_SGPR: 2
; COMPUTE_PGM_RSRC2:TRAP_HANDLER: 0
; COMPUTE_PGM_RSRC2:TGID_X_EN: 1
; COMPUTE_PGM_RSRC2:TGID_Y_EN: 0
; COMPUTE_PGM_RSRC2:TGID_Z_EN: 0
; COMPUTE_PGM_RSRC2:TIDIG_COMP_CNT: 0
	.section	.text._ZN7rocprim17ROCPRIM_400000_NS6detail17trampoline_kernelINS0_14default_configENS1_25transform_config_selectorIjLb1EEEZNS1_14transform_implILb1ES3_S5_PjS7_NS0_8identityIjEEEE10hipError_tT2_T3_mT4_P12ihipStream_tbEUlT_E_NS1_11comp_targetILNS1_3genE10ELNS1_11target_archE1201ELNS1_3gpuE5ELNS1_3repE0EEENS1_30default_config_static_selectorELNS0_4arch9wavefront6targetE0EEEvT1_,"axG",@progbits,_ZN7rocprim17ROCPRIM_400000_NS6detail17trampoline_kernelINS0_14default_configENS1_25transform_config_selectorIjLb1EEEZNS1_14transform_implILb1ES3_S5_PjS7_NS0_8identityIjEEEE10hipError_tT2_T3_mT4_P12ihipStream_tbEUlT_E_NS1_11comp_targetILNS1_3genE10ELNS1_11target_archE1201ELNS1_3gpuE5ELNS1_3repE0EEENS1_30default_config_static_selectorELNS0_4arch9wavefront6targetE0EEEvT1_,comdat
	.protected	_ZN7rocprim17ROCPRIM_400000_NS6detail17trampoline_kernelINS0_14default_configENS1_25transform_config_selectorIjLb1EEEZNS1_14transform_implILb1ES3_S5_PjS7_NS0_8identityIjEEEE10hipError_tT2_T3_mT4_P12ihipStream_tbEUlT_E_NS1_11comp_targetILNS1_3genE10ELNS1_11target_archE1201ELNS1_3gpuE5ELNS1_3repE0EEENS1_30default_config_static_selectorELNS0_4arch9wavefront6targetE0EEEvT1_ ; -- Begin function _ZN7rocprim17ROCPRIM_400000_NS6detail17trampoline_kernelINS0_14default_configENS1_25transform_config_selectorIjLb1EEEZNS1_14transform_implILb1ES3_S5_PjS7_NS0_8identityIjEEEE10hipError_tT2_T3_mT4_P12ihipStream_tbEUlT_E_NS1_11comp_targetILNS1_3genE10ELNS1_11target_archE1201ELNS1_3gpuE5ELNS1_3repE0EEENS1_30default_config_static_selectorELNS0_4arch9wavefront6targetE0EEEvT1_
	.globl	_ZN7rocprim17ROCPRIM_400000_NS6detail17trampoline_kernelINS0_14default_configENS1_25transform_config_selectorIjLb1EEEZNS1_14transform_implILb1ES3_S5_PjS7_NS0_8identityIjEEEE10hipError_tT2_T3_mT4_P12ihipStream_tbEUlT_E_NS1_11comp_targetILNS1_3genE10ELNS1_11target_archE1201ELNS1_3gpuE5ELNS1_3repE0EEENS1_30default_config_static_selectorELNS0_4arch9wavefront6targetE0EEEvT1_
	.p2align	8
	.type	_ZN7rocprim17ROCPRIM_400000_NS6detail17trampoline_kernelINS0_14default_configENS1_25transform_config_selectorIjLb1EEEZNS1_14transform_implILb1ES3_S5_PjS7_NS0_8identityIjEEEE10hipError_tT2_T3_mT4_P12ihipStream_tbEUlT_E_NS1_11comp_targetILNS1_3genE10ELNS1_11target_archE1201ELNS1_3gpuE5ELNS1_3repE0EEENS1_30default_config_static_selectorELNS0_4arch9wavefront6targetE0EEEvT1_,@function
_ZN7rocprim17ROCPRIM_400000_NS6detail17trampoline_kernelINS0_14default_configENS1_25transform_config_selectorIjLb1EEEZNS1_14transform_implILb1ES3_S5_PjS7_NS0_8identityIjEEEE10hipError_tT2_T3_mT4_P12ihipStream_tbEUlT_E_NS1_11comp_targetILNS1_3genE10ELNS1_11target_archE1201ELNS1_3gpuE5ELNS1_3repE0EEENS1_30default_config_static_selectorELNS0_4arch9wavefront6targetE0EEEvT1_: ; @_ZN7rocprim17ROCPRIM_400000_NS6detail17trampoline_kernelINS0_14default_configENS1_25transform_config_selectorIjLb1EEEZNS1_14transform_implILb1ES3_S5_PjS7_NS0_8identityIjEEEE10hipError_tT2_T3_mT4_P12ihipStream_tbEUlT_E_NS1_11comp_targetILNS1_3genE10ELNS1_11target_archE1201ELNS1_3gpuE5ELNS1_3repE0EEENS1_30default_config_static_selectorELNS0_4arch9wavefront6targetE0EEEvT1_
; %bb.0:
	.section	.rodata,"a",@progbits
	.p2align	6, 0x0
	.amdhsa_kernel _ZN7rocprim17ROCPRIM_400000_NS6detail17trampoline_kernelINS0_14default_configENS1_25transform_config_selectorIjLb1EEEZNS1_14transform_implILb1ES3_S5_PjS7_NS0_8identityIjEEEE10hipError_tT2_T3_mT4_P12ihipStream_tbEUlT_E_NS1_11comp_targetILNS1_3genE10ELNS1_11target_archE1201ELNS1_3gpuE5ELNS1_3repE0EEENS1_30default_config_static_selectorELNS0_4arch9wavefront6targetE0EEEvT1_
		.amdhsa_group_segment_fixed_size 0
		.amdhsa_private_segment_fixed_size 0
		.amdhsa_kernarg_size 40
		.amdhsa_user_sgpr_count 2
		.amdhsa_user_sgpr_dispatch_ptr 0
		.amdhsa_user_sgpr_queue_ptr 0
		.amdhsa_user_sgpr_kernarg_segment_ptr 1
		.amdhsa_user_sgpr_dispatch_id 0
		.amdhsa_user_sgpr_kernarg_preload_length 0
		.amdhsa_user_sgpr_kernarg_preload_offset 0
		.amdhsa_user_sgpr_private_segment_size 0
		.amdhsa_wavefront_size32 1
		.amdhsa_uses_dynamic_stack 0
		.amdhsa_enable_private_segment 0
		.amdhsa_system_sgpr_workgroup_id_x 1
		.amdhsa_system_sgpr_workgroup_id_y 0
		.amdhsa_system_sgpr_workgroup_id_z 0
		.amdhsa_system_sgpr_workgroup_info 0
		.amdhsa_system_vgpr_workitem_id 0
		.amdhsa_next_free_vgpr 1
		.amdhsa_next_free_sgpr 1
		.amdhsa_named_barrier_count 0
		.amdhsa_reserve_vcc 0
		.amdhsa_float_round_mode_32 0
		.amdhsa_float_round_mode_16_64 0
		.amdhsa_float_denorm_mode_32 3
		.amdhsa_float_denorm_mode_16_64 3
		.amdhsa_fp16_overflow 0
		.amdhsa_memory_ordered 1
		.amdhsa_forward_progress 1
		.amdhsa_inst_pref_size 0
		.amdhsa_round_robin_scheduling 0
		.amdhsa_exception_fp_ieee_invalid_op 0
		.amdhsa_exception_fp_denorm_src 0
		.amdhsa_exception_fp_ieee_div_zero 0
		.amdhsa_exception_fp_ieee_overflow 0
		.amdhsa_exception_fp_ieee_underflow 0
		.amdhsa_exception_fp_ieee_inexact 0
		.amdhsa_exception_int_div_zero 0
	.end_amdhsa_kernel
	.section	.text._ZN7rocprim17ROCPRIM_400000_NS6detail17trampoline_kernelINS0_14default_configENS1_25transform_config_selectorIjLb1EEEZNS1_14transform_implILb1ES3_S5_PjS7_NS0_8identityIjEEEE10hipError_tT2_T3_mT4_P12ihipStream_tbEUlT_E_NS1_11comp_targetILNS1_3genE10ELNS1_11target_archE1201ELNS1_3gpuE5ELNS1_3repE0EEENS1_30default_config_static_selectorELNS0_4arch9wavefront6targetE0EEEvT1_,"axG",@progbits,_ZN7rocprim17ROCPRIM_400000_NS6detail17trampoline_kernelINS0_14default_configENS1_25transform_config_selectorIjLb1EEEZNS1_14transform_implILb1ES3_S5_PjS7_NS0_8identityIjEEEE10hipError_tT2_T3_mT4_P12ihipStream_tbEUlT_E_NS1_11comp_targetILNS1_3genE10ELNS1_11target_archE1201ELNS1_3gpuE5ELNS1_3repE0EEENS1_30default_config_static_selectorELNS0_4arch9wavefront6targetE0EEEvT1_,comdat
.Lfunc_end12:
	.size	_ZN7rocprim17ROCPRIM_400000_NS6detail17trampoline_kernelINS0_14default_configENS1_25transform_config_selectorIjLb1EEEZNS1_14transform_implILb1ES3_S5_PjS7_NS0_8identityIjEEEE10hipError_tT2_T3_mT4_P12ihipStream_tbEUlT_E_NS1_11comp_targetILNS1_3genE10ELNS1_11target_archE1201ELNS1_3gpuE5ELNS1_3repE0EEENS1_30default_config_static_selectorELNS0_4arch9wavefront6targetE0EEEvT1_, .Lfunc_end12-_ZN7rocprim17ROCPRIM_400000_NS6detail17trampoline_kernelINS0_14default_configENS1_25transform_config_selectorIjLb1EEEZNS1_14transform_implILb1ES3_S5_PjS7_NS0_8identityIjEEEE10hipError_tT2_T3_mT4_P12ihipStream_tbEUlT_E_NS1_11comp_targetILNS1_3genE10ELNS1_11target_archE1201ELNS1_3gpuE5ELNS1_3repE0EEENS1_30default_config_static_selectorELNS0_4arch9wavefront6targetE0EEEvT1_
                                        ; -- End function
	.set _ZN7rocprim17ROCPRIM_400000_NS6detail17trampoline_kernelINS0_14default_configENS1_25transform_config_selectorIjLb1EEEZNS1_14transform_implILb1ES3_S5_PjS7_NS0_8identityIjEEEE10hipError_tT2_T3_mT4_P12ihipStream_tbEUlT_E_NS1_11comp_targetILNS1_3genE10ELNS1_11target_archE1201ELNS1_3gpuE5ELNS1_3repE0EEENS1_30default_config_static_selectorELNS0_4arch9wavefront6targetE0EEEvT1_.num_vgpr, 0
	.set _ZN7rocprim17ROCPRIM_400000_NS6detail17trampoline_kernelINS0_14default_configENS1_25transform_config_selectorIjLb1EEEZNS1_14transform_implILb1ES3_S5_PjS7_NS0_8identityIjEEEE10hipError_tT2_T3_mT4_P12ihipStream_tbEUlT_E_NS1_11comp_targetILNS1_3genE10ELNS1_11target_archE1201ELNS1_3gpuE5ELNS1_3repE0EEENS1_30default_config_static_selectorELNS0_4arch9wavefront6targetE0EEEvT1_.num_agpr, 0
	.set _ZN7rocprim17ROCPRIM_400000_NS6detail17trampoline_kernelINS0_14default_configENS1_25transform_config_selectorIjLb1EEEZNS1_14transform_implILb1ES3_S5_PjS7_NS0_8identityIjEEEE10hipError_tT2_T3_mT4_P12ihipStream_tbEUlT_E_NS1_11comp_targetILNS1_3genE10ELNS1_11target_archE1201ELNS1_3gpuE5ELNS1_3repE0EEENS1_30default_config_static_selectorELNS0_4arch9wavefront6targetE0EEEvT1_.numbered_sgpr, 0
	.set _ZN7rocprim17ROCPRIM_400000_NS6detail17trampoline_kernelINS0_14default_configENS1_25transform_config_selectorIjLb1EEEZNS1_14transform_implILb1ES3_S5_PjS7_NS0_8identityIjEEEE10hipError_tT2_T3_mT4_P12ihipStream_tbEUlT_E_NS1_11comp_targetILNS1_3genE10ELNS1_11target_archE1201ELNS1_3gpuE5ELNS1_3repE0EEENS1_30default_config_static_selectorELNS0_4arch9wavefront6targetE0EEEvT1_.num_named_barrier, 0
	.set _ZN7rocprim17ROCPRIM_400000_NS6detail17trampoline_kernelINS0_14default_configENS1_25transform_config_selectorIjLb1EEEZNS1_14transform_implILb1ES3_S5_PjS7_NS0_8identityIjEEEE10hipError_tT2_T3_mT4_P12ihipStream_tbEUlT_E_NS1_11comp_targetILNS1_3genE10ELNS1_11target_archE1201ELNS1_3gpuE5ELNS1_3repE0EEENS1_30default_config_static_selectorELNS0_4arch9wavefront6targetE0EEEvT1_.private_seg_size, 0
	.set _ZN7rocprim17ROCPRIM_400000_NS6detail17trampoline_kernelINS0_14default_configENS1_25transform_config_selectorIjLb1EEEZNS1_14transform_implILb1ES3_S5_PjS7_NS0_8identityIjEEEE10hipError_tT2_T3_mT4_P12ihipStream_tbEUlT_E_NS1_11comp_targetILNS1_3genE10ELNS1_11target_archE1201ELNS1_3gpuE5ELNS1_3repE0EEENS1_30default_config_static_selectorELNS0_4arch9wavefront6targetE0EEEvT1_.uses_vcc, 0
	.set _ZN7rocprim17ROCPRIM_400000_NS6detail17trampoline_kernelINS0_14default_configENS1_25transform_config_selectorIjLb1EEEZNS1_14transform_implILb1ES3_S5_PjS7_NS0_8identityIjEEEE10hipError_tT2_T3_mT4_P12ihipStream_tbEUlT_E_NS1_11comp_targetILNS1_3genE10ELNS1_11target_archE1201ELNS1_3gpuE5ELNS1_3repE0EEENS1_30default_config_static_selectorELNS0_4arch9wavefront6targetE0EEEvT1_.uses_flat_scratch, 0
	.set _ZN7rocprim17ROCPRIM_400000_NS6detail17trampoline_kernelINS0_14default_configENS1_25transform_config_selectorIjLb1EEEZNS1_14transform_implILb1ES3_S5_PjS7_NS0_8identityIjEEEE10hipError_tT2_T3_mT4_P12ihipStream_tbEUlT_E_NS1_11comp_targetILNS1_3genE10ELNS1_11target_archE1201ELNS1_3gpuE5ELNS1_3repE0EEENS1_30default_config_static_selectorELNS0_4arch9wavefront6targetE0EEEvT1_.has_dyn_sized_stack, 0
	.set _ZN7rocprim17ROCPRIM_400000_NS6detail17trampoline_kernelINS0_14default_configENS1_25transform_config_selectorIjLb1EEEZNS1_14transform_implILb1ES3_S5_PjS7_NS0_8identityIjEEEE10hipError_tT2_T3_mT4_P12ihipStream_tbEUlT_E_NS1_11comp_targetILNS1_3genE10ELNS1_11target_archE1201ELNS1_3gpuE5ELNS1_3repE0EEENS1_30default_config_static_selectorELNS0_4arch9wavefront6targetE0EEEvT1_.has_recursion, 0
	.set _ZN7rocprim17ROCPRIM_400000_NS6detail17trampoline_kernelINS0_14default_configENS1_25transform_config_selectorIjLb1EEEZNS1_14transform_implILb1ES3_S5_PjS7_NS0_8identityIjEEEE10hipError_tT2_T3_mT4_P12ihipStream_tbEUlT_E_NS1_11comp_targetILNS1_3genE10ELNS1_11target_archE1201ELNS1_3gpuE5ELNS1_3repE0EEENS1_30default_config_static_selectorELNS0_4arch9wavefront6targetE0EEEvT1_.has_indirect_call, 0
	.section	.AMDGPU.csdata,"",@progbits
; Kernel info:
; codeLenInByte = 0
; TotalNumSgprs: 0
; NumVgprs: 0
; ScratchSize: 0
; MemoryBound: 0
; FloatMode: 240
; IeeeMode: 1
; LDSByteSize: 0 bytes/workgroup (compile time only)
; SGPRBlocks: 0
; VGPRBlocks: 0
; NumSGPRsForWavesPerEU: 1
; NumVGPRsForWavesPerEU: 1
; NamedBarCnt: 0
; Occupancy: 16
; WaveLimiterHint : 0
; COMPUTE_PGM_RSRC2:SCRATCH_EN: 0
; COMPUTE_PGM_RSRC2:USER_SGPR: 2
; COMPUTE_PGM_RSRC2:TRAP_HANDLER: 0
; COMPUTE_PGM_RSRC2:TGID_X_EN: 1
; COMPUTE_PGM_RSRC2:TGID_Y_EN: 0
; COMPUTE_PGM_RSRC2:TGID_Z_EN: 0
; COMPUTE_PGM_RSRC2:TIDIG_COMP_CNT: 0
	.section	.text._ZN7rocprim17ROCPRIM_400000_NS6detail17trampoline_kernelINS0_14default_configENS1_25transform_config_selectorIjLb1EEEZNS1_14transform_implILb1ES3_S5_PjS7_NS0_8identityIjEEEE10hipError_tT2_T3_mT4_P12ihipStream_tbEUlT_E_NS1_11comp_targetILNS1_3genE5ELNS1_11target_archE942ELNS1_3gpuE9ELNS1_3repE0EEENS1_30default_config_static_selectorELNS0_4arch9wavefront6targetE0EEEvT1_,"axG",@progbits,_ZN7rocprim17ROCPRIM_400000_NS6detail17trampoline_kernelINS0_14default_configENS1_25transform_config_selectorIjLb1EEEZNS1_14transform_implILb1ES3_S5_PjS7_NS0_8identityIjEEEE10hipError_tT2_T3_mT4_P12ihipStream_tbEUlT_E_NS1_11comp_targetILNS1_3genE5ELNS1_11target_archE942ELNS1_3gpuE9ELNS1_3repE0EEENS1_30default_config_static_selectorELNS0_4arch9wavefront6targetE0EEEvT1_,comdat
	.protected	_ZN7rocprim17ROCPRIM_400000_NS6detail17trampoline_kernelINS0_14default_configENS1_25transform_config_selectorIjLb1EEEZNS1_14transform_implILb1ES3_S5_PjS7_NS0_8identityIjEEEE10hipError_tT2_T3_mT4_P12ihipStream_tbEUlT_E_NS1_11comp_targetILNS1_3genE5ELNS1_11target_archE942ELNS1_3gpuE9ELNS1_3repE0EEENS1_30default_config_static_selectorELNS0_4arch9wavefront6targetE0EEEvT1_ ; -- Begin function _ZN7rocprim17ROCPRIM_400000_NS6detail17trampoline_kernelINS0_14default_configENS1_25transform_config_selectorIjLb1EEEZNS1_14transform_implILb1ES3_S5_PjS7_NS0_8identityIjEEEE10hipError_tT2_T3_mT4_P12ihipStream_tbEUlT_E_NS1_11comp_targetILNS1_3genE5ELNS1_11target_archE942ELNS1_3gpuE9ELNS1_3repE0EEENS1_30default_config_static_selectorELNS0_4arch9wavefront6targetE0EEEvT1_
	.globl	_ZN7rocprim17ROCPRIM_400000_NS6detail17trampoline_kernelINS0_14default_configENS1_25transform_config_selectorIjLb1EEEZNS1_14transform_implILb1ES3_S5_PjS7_NS0_8identityIjEEEE10hipError_tT2_T3_mT4_P12ihipStream_tbEUlT_E_NS1_11comp_targetILNS1_3genE5ELNS1_11target_archE942ELNS1_3gpuE9ELNS1_3repE0EEENS1_30default_config_static_selectorELNS0_4arch9wavefront6targetE0EEEvT1_
	.p2align	8
	.type	_ZN7rocprim17ROCPRIM_400000_NS6detail17trampoline_kernelINS0_14default_configENS1_25transform_config_selectorIjLb1EEEZNS1_14transform_implILb1ES3_S5_PjS7_NS0_8identityIjEEEE10hipError_tT2_T3_mT4_P12ihipStream_tbEUlT_E_NS1_11comp_targetILNS1_3genE5ELNS1_11target_archE942ELNS1_3gpuE9ELNS1_3repE0EEENS1_30default_config_static_selectorELNS0_4arch9wavefront6targetE0EEEvT1_,@function
_ZN7rocprim17ROCPRIM_400000_NS6detail17trampoline_kernelINS0_14default_configENS1_25transform_config_selectorIjLb1EEEZNS1_14transform_implILb1ES3_S5_PjS7_NS0_8identityIjEEEE10hipError_tT2_T3_mT4_P12ihipStream_tbEUlT_E_NS1_11comp_targetILNS1_3genE5ELNS1_11target_archE942ELNS1_3gpuE9ELNS1_3repE0EEENS1_30default_config_static_selectorELNS0_4arch9wavefront6targetE0EEEvT1_: ; @_ZN7rocprim17ROCPRIM_400000_NS6detail17trampoline_kernelINS0_14default_configENS1_25transform_config_selectorIjLb1EEEZNS1_14transform_implILb1ES3_S5_PjS7_NS0_8identityIjEEEE10hipError_tT2_T3_mT4_P12ihipStream_tbEUlT_E_NS1_11comp_targetILNS1_3genE5ELNS1_11target_archE942ELNS1_3gpuE9ELNS1_3repE0EEENS1_30default_config_static_selectorELNS0_4arch9wavefront6targetE0EEEvT1_
; %bb.0:
	.section	.rodata,"a",@progbits
	.p2align	6, 0x0
	.amdhsa_kernel _ZN7rocprim17ROCPRIM_400000_NS6detail17trampoline_kernelINS0_14default_configENS1_25transform_config_selectorIjLb1EEEZNS1_14transform_implILb1ES3_S5_PjS7_NS0_8identityIjEEEE10hipError_tT2_T3_mT4_P12ihipStream_tbEUlT_E_NS1_11comp_targetILNS1_3genE5ELNS1_11target_archE942ELNS1_3gpuE9ELNS1_3repE0EEENS1_30default_config_static_selectorELNS0_4arch9wavefront6targetE0EEEvT1_
		.amdhsa_group_segment_fixed_size 0
		.amdhsa_private_segment_fixed_size 0
		.amdhsa_kernarg_size 40
		.amdhsa_user_sgpr_count 2
		.amdhsa_user_sgpr_dispatch_ptr 0
		.amdhsa_user_sgpr_queue_ptr 0
		.amdhsa_user_sgpr_kernarg_segment_ptr 1
		.amdhsa_user_sgpr_dispatch_id 0
		.amdhsa_user_sgpr_kernarg_preload_length 0
		.amdhsa_user_sgpr_kernarg_preload_offset 0
		.amdhsa_user_sgpr_private_segment_size 0
		.amdhsa_wavefront_size32 1
		.amdhsa_uses_dynamic_stack 0
		.amdhsa_enable_private_segment 0
		.amdhsa_system_sgpr_workgroup_id_x 1
		.amdhsa_system_sgpr_workgroup_id_y 0
		.amdhsa_system_sgpr_workgroup_id_z 0
		.amdhsa_system_sgpr_workgroup_info 0
		.amdhsa_system_vgpr_workitem_id 0
		.amdhsa_next_free_vgpr 1
		.amdhsa_next_free_sgpr 1
		.amdhsa_named_barrier_count 0
		.amdhsa_reserve_vcc 0
		.amdhsa_float_round_mode_32 0
		.amdhsa_float_round_mode_16_64 0
		.amdhsa_float_denorm_mode_32 3
		.amdhsa_float_denorm_mode_16_64 3
		.amdhsa_fp16_overflow 0
		.amdhsa_memory_ordered 1
		.amdhsa_forward_progress 1
		.amdhsa_inst_pref_size 0
		.amdhsa_round_robin_scheduling 0
		.amdhsa_exception_fp_ieee_invalid_op 0
		.amdhsa_exception_fp_denorm_src 0
		.amdhsa_exception_fp_ieee_div_zero 0
		.amdhsa_exception_fp_ieee_overflow 0
		.amdhsa_exception_fp_ieee_underflow 0
		.amdhsa_exception_fp_ieee_inexact 0
		.amdhsa_exception_int_div_zero 0
	.end_amdhsa_kernel
	.section	.text._ZN7rocprim17ROCPRIM_400000_NS6detail17trampoline_kernelINS0_14default_configENS1_25transform_config_selectorIjLb1EEEZNS1_14transform_implILb1ES3_S5_PjS7_NS0_8identityIjEEEE10hipError_tT2_T3_mT4_P12ihipStream_tbEUlT_E_NS1_11comp_targetILNS1_3genE5ELNS1_11target_archE942ELNS1_3gpuE9ELNS1_3repE0EEENS1_30default_config_static_selectorELNS0_4arch9wavefront6targetE0EEEvT1_,"axG",@progbits,_ZN7rocprim17ROCPRIM_400000_NS6detail17trampoline_kernelINS0_14default_configENS1_25transform_config_selectorIjLb1EEEZNS1_14transform_implILb1ES3_S5_PjS7_NS0_8identityIjEEEE10hipError_tT2_T3_mT4_P12ihipStream_tbEUlT_E_NS1_11comp_targetILNS1_3genE5ELNS1_11target_archE942ELNS1_3gpuE9ELNS1_3repE0EEENS1_30default_config_static_selectorELNS0_4arch9wavefront6targetE0EEEvT1_,comdat
.Lfunc_end13:
	.size	_ZN7rocprim17ROCPRIM_400000_NS6detail17trampoline_kernelINS0_14default_configENS1_25transform_config_selectorIjLb1EEEZNS1_14transform_implILb1ES3_S5_PjS7_NS0_8identityIjEEEE10hipError_tT2_T3_mT4_P12ihipStream_tbEUlT_E_NS1_11comp_targetILNS1_3genE5ELNS1_11target_archE942ELNS1_3gpuE9ELNS1_3repE0EEENS1_30default_config_static_selectorELNS0_4arch9wavefront6targetE0EEEvT1_, .Lfunc_end13-_ZN7rocprim17ROCPRIM_400000_NS6detail17trampoline_kernelINS0_14default_configENS1_25transform_config_selectorIjLb1EEEZNS1_14transform_implILb1ES3_S5_PjS7_NS0_8identityIjEEEE10hipError_tT2_T3_mT4_P12ihipStream_tbEUlT_E_NS1_11comp_targetILNS1_3genE5ELNS1_11target_archE942ELNS1_3gpuE9ELNS1_3repE0EEENS1_30default_config_static_selectorELNS0_4arch9wavefront6targetE0EEEvT1_
                                        ; -- End function
	.set _ZN7rocprim17ROCPRIM_400000_NS6detail17trampoline_kernelINS0_14default_configENS1_25transform_config_selectorIjLb1EEEZNS1_14transform_implILb1ES3_S5_PjS7_NS0_8identityIjEEEE10hipError_tT2_T3_mT4_P12ihipStream_tbEUlT_E_NS1_11comp_targetILNS1_3genE5ELNS1_11target_archE942ELNS1_3gpuE9ELNS1_3repE0EEENS1_30default_config_static_selectorELNS0_4arch9wavefront6targetE0EEEvT1_.num_vgpr, 0
	.set _ZN7rocprim17ROCPRIM_400000_NS6detail17trampoline_kernelINS0_14default_configENS1_25transform_config_selectorIjLb1EEEZNS1_14transform_implILb1ES3_S5_PjS7_NS0_8identityIjEEEE10hipError_tT2_T3_mT4_P12ihipStream_tbEUlT_E_NS1_11comp_targetILNS1_3genE5ELNS1_11target_archE942ELNS1_3gpuE9ELNS1_3repE0EEENS1_30default_config_static_selectorELNS0_4arch9wavefront6targetE0EEEvT1_.num_agpr, 0
	.set _ZN7rocprim17ROCPRIM_400000_NS6detail17trampoline_kernelINS0_14default_configENS1_25transform_config_selectorIjLb1EEEZNS1_14transform_implILb1ES3_S5_PjS7_NS0_8identityIjEEEE10hipError_tT2_T3_mT4_P12ihipStream_tbEUlT_E_NS1_11comp_targetILNS1_3genE5ELNS1_11target_archE942ELNS1_3gpuE9ELNS1_3repE0EEENS1_30default_config_static_selectorELNS0_4arch9wavefront6targetE0EEEvT1_.numbered_sgpr, 0
	.set _ZN7rocprim17ROCPRIM_400000_NS6detail17trampoline_kernelINS0_14default_configENS1_25transform_config_selectorIjLb1EEEZNS1_14transform_implILb1ES3_S5_PjS7_NS0_8identityIjEEEE10hipError_tT2_T3_mT4_P12ihipStream_tbEUlT_E_NS1_11comp_targetILNS1_3genE5ELNS1_11target_archE942ELNS1_3gpuE9ELNS1_3repE0EEENS1_30default_config_static_selectorELNS0_4arch9wavefront6targetE0EEEvT1_.num_named_barrier, 0
	.set _ZN7rocprim17ROCPRIM_400000_NS6detail17trampoline_kernelINS0_14default_configENS1_25transform_config_selectorIjLb1EEEZNS1_14transform_implILb1ES3_S5_PjS7_NS0_8identityIjEEEE10hipError_tT2_T3_mT4_P12ihipStream_tbEUlT_E_NS1_11comp_targetILNS1_3genE5ELNS1_11target_archE942ELNS1_3gpuE9ELNS1_3repE0EEENS1_30default_config_static_selectorELNS0_4arch9wavefront6targetE0EEEvT1_.private_seg_size, 0
	.set _ZN7rocprim17ROCPRIM_400000_NS6detail17trampoline_kernelINS0_14default_configENS1_25transform_config_selectorIjLb1EEEZNS1_14transform_implILb1ES3_S5_PjS7_NS0_8identityIjEEEE10hipError_tT2_T3_mT4_P12ihipStream_tbEUlT_E_NS1_11comp_targetILNS1_3genE5ELNS1_11target_archE942ELNS1_3gpuE9ELNS1_3repE0EEENS1_30default_config_static_selectorELNS0_4arch9wavefront6targetE0EEEvT1_.uses_vcc, 0
	.set _ZN7rocprim17ROCPRIM_400000_NS6detail17trampoline_kernelINS0_14default_configENS1_25transform_config_selectorIjLb1EEEZNS1_14transform_implILb1ES3_S5_PjS7_NS0_8identityIjEEEE10hipError_tT2_T3_mT4_P12ihipStream_tbEUlT_E_NS1_11comp_targetILNS1_3genE5ELNS1_11target_archE942ELNS1_3gpuE9ELNS1_3repE0EEENS1_30default_config_static_selectorELNS0_4arch9wavefront6targetE0EEEvT1_.uses_flat_scratch, 0
	.set _ZN7rocprim17ROCPRIM_400000_NS6detail17trampoline_kernelINS0_14default_configENS1_25transform_config_selectorIjLb1EEEZNS1_14transform_implILb1ES3_S5_PjS7_NS0_8identityIjEEEE10hipError_tT2_T3_mT4_P12ihipStream_tbEUlT_E_NS1_11comp_targetILNS1_3genE5ELNS1_11target_archE942ELNS1_3gpuE9ELNS1_3repE0EEENS1_30default_config_static_selectorELNS0_4arch9wavefront6targetE0EEEvT1_.has_dyn_sized_stack, 0
	.set _ZN7rocprim17ROCPRIM_400000_NS6detail17trampoline_kernelINS0_14default_configENS1_25transform_config_selectorIjLb1EEEZNS1_14transform_implILb1ES3_S5_PjS7_NS0_8identityIjEEEE10hipError_tT2_T3_mT4_P12ihipStream_tbEUlT_E_NS1_11comp_targetILNS1_3genE5ELNS1_11target_archE942ELNS1_3gpuE9ELNS1_3repE0EEENS1_30default_config_static_selectorELNS0_4arch9wavefront6targetE0EEEvT1_.has_recursion, 0
	.set _ZN7rocprim17ROCPRIM_400000_NS6detail17trampoline_kernelINS0_14default_configENS1_25transform_config_selectorIjLb1EEEZNS1_14transform_implILb1ES3_S5_PjS7_NS0_8identityIjEEEE10hipError_tT2_T3_mT4_P12ihipStream_tbEUlT_E_NS1_11comp_targetILNS1_3genE5ELNS1_11target_archE942ELNS1_3gpuE9ELNS1_3repE0EEENS1_30default_config_static_selectorELNS0_4arch9wavefront6targetE0EEEvT1_.has_indirect_call, 0
	.section	.AMDGPU.csdata,"",@progbits
; Kernel info:
; codeLenInByte = 0
; TotalNumSgprs: 0
; NumVgprs: 0
; ScratchSize: 0
; MemoryBound: 0
; FloatMode: 240
; IeeeMode: 1
; LDSByteSize: 0 bytes/workgroup (compile time only)
; SGPRBlocks: 0
; VGPRBlocks: 0
; NumSGPRsForWavesPerEU: 1
; NumVGPRsForWavesPerEU: 1
; NamedBarCnt: 0
; Occupancy: 16
; WaveLimiterHint : 0
; COMPUTE_PGM_RSRC2:SCRATCH_EN: 0
; COMPUTE_PGM_RSRC2:USER_SGPR: 2
; COMPUTE_PGM_RSRC2:TRAP_HANDLER: 0
; COMPUTE_PGM_RSRC2:TGID_X_EN: 1
; COMPUTE_PGM_RSRC2:TGID_Y_EN: 0
; COMPUTE_PGM_RSRC2:TGID_Z_EN: 0
; COMPUTE_PGM_RSRC2:TIDIG_COMP_CNT: 0
	.section	.text._ZN7rocprim17ROCPRIM_400000_NS6detail17trampoline_kernelINS0_14default_configENS1_25transform_config_selectorIjLb1EEEZNS1_14transform_implILb1ES3_S5_PjS7_NS0_8identityIjEEEE10hipError_tT2_T3_mT4_P12ihipStream_tbEUlT_E_NS1_11comp_targetILNS1_3genE4ELNS1_11target_archE910ELNS1_3gpuE8ELNS1_3repE0EEENS1_30default_config_static_selectorELNS0_4arch9wavefront6targetE0EEEvT1_,"axG",@progbits,_ZN7rocprim17ROCPRIM_400000_NS6detail17trampoline_kernelINS0_14default_configENS1_25transform_config_selectorIjLb1EEEZNS1_14transform_implILb1ES3_S5_PjS7_NS0_8identityIjEEEE10hipError_tT2_T3_mT4_P12ihipStream_tbEUlT_E_NS1_11comp_targetILNS1_3genE4ELNS1_11target_archE910ELNS1_3gpuE8ELNS1_3repE0EEENS1_30default_config_static_selectorELNS0_4arch9wavefront6targetE0EEEvT1_,comdat
	.protected	_ZN7rocprim17ROCPRIM_400000_NS6detail17trampoline_kernelINS0_14default_configENS1_25transform_config_selectorIjLb1EEEZNS1_14transform_implILb1ES3_S5_PjS7_NS0_8identityIjEEEE10hipError_tT2_T3_mT4_P12ihipStream_tbEUlT_E_NS1_11comp_targetILNS1_3genE4ELNS1_11target_archE910ELNS1_3gpuE8ELNS1_3repE0EEENS1_30default_config_static_selectorELNS0_4arch9wavefront6targetE0EEEvT1_ ; -- Begin function _ZN7rocprim17ROCPRIM_400000_NS6detail17trampoline_kernelINS0_14default_configENS1_25transform_config_selectorIjLb1EEEZNS1_14transform_implILb1ES3_S5_PjS7_NS0_8identityIjEEEE10hipError_tT2_T3_mT4_P12ihipStream_tbEUlT_E_NS1_11comp_targetILNS1_3genE4ELNS1_11target_archE910ELNS1_3gpuE8ELNS1_3repE0EEENS1_30default_config_static_selectorELNS0_4arch9wavefront6targetE0EEEvT1_
	.globl	_ZN7rocprim17ROCPRIM_400000_NS6detail17trampoline_kernelINS0_14default_configENS1_25transform_config_selectorIjLb1EEEZNS1_14transform_implILb1ES3_S5_PjS7_NS0_8identityIjEEEE10hipError_tT2_T3_mT4_P12ihipStream_tbEUlT_E_NS1_11comp_targetILNS1_3genE4ELNS1_11target_archE910ELNS1_3gpuE8ELNS1_3repE0EEENS1_30default_config_static_selectorELNS0_4arch9wavefront6targetE0EEEvT1_
	.p2align	8
	.type	_ZN7rocprim17ROCPRIM_400000_NS6detail17trampoline_kernelINS0_14default_configENS1_25transform_config_selectorIjLb1EEEZNS1_14transform_implILb1ES3_S5_PjS7_NS0_8identityIjEEEE10hipError_tT2_T3_mT4_P12ihipStream_tbEUlT_E_NS1_11comp_targetILNS1_3genE4ELNS1_11target_archE910ELNS1_3gpuE8ELNS1_3repE0EEENS1_30default_config_static_selectorELNS0_4arch9wavefront6targetE0EEEvT1_,@function
_ZN7rocprim17ROCPRIM_400000_NS6detail17trampoline_kernelINS0_14default_configENS1_25transform_config_selectorIjLb1EEEZNS1_14transform_implILb1ES3_S5_PjS7_NS0_8identityIjEEEE10hipError_tT2_T3_mT4_P12ihipStream_tbEUlT_E_NS1_11comp_targetILNS1_3genE4ELNS1_11target_archE910ELNS1_3gpuE8ELNS1_3repE0EEENS1_30default_config_static_selectorELNS0_4arch9wavefront6targetE0EEEvT1_: ; @_ZN7rocprim17ROCPRIM_400000_NS6detail17trampoline_kernelINS0_14default_configENS1_25transform_config_selectorIjLb1EEEZNS1_14transform_implILb1ES3_S5_PjS7_NS0_8identityIjEEEE10hipError_tT2_T3_mT4_P12ihipStream_tbEUlT_E_NS1_11comp_targetILNS1_3genE4ELNS1_11target_archE910ELNS1_3gpuE8ELNS1_3repE0EEENS1_30default_config_static_selectorELNS0_4arch9wavefront6targetE0EEEvT1_
; %bb.0:
	.section	.rodata,"a",@progbits
	.p2align	6, 0x0
	.amdhsa_kernel _ZN7rocprim17ROCPRIM_400000_NS6detail17trampoline_kernelINS0_14default_configENS1_25transform_config_selectorIjLb1EEEZNS1_14transform_implILb1ES3_S5_PjS7_NS0_8identityIjEEEE10hipError_tT2_T3_mT4_P12ihipStream_tbEUlT_E_NS1_11comp_targetILNS1_3genE4ELNS1_11target_archE910ELNS1_3gpuE8ELNS1_3repE0EEENS1_30default_config_static_selectorELNS0_4arch9wavefront6targetE0EEEvT1_
		.amdhsa_group_segment_fixed_size 0
		.amdhsa_private_segment_fixed_size 0
		.amdhsa_kernarg_size 40
		.amdhsa_user_sgpr_count 2
		.amdhsa_user_sgpr_dispatch_ptr 0
		.amdhsa_user_sgpr_queue_ptr 0
		.amdhsa_user_sgpr_kernarg_segment_ptr 1
		.amdhsa_user_sgpr_dispatch_id 0
		.amdhsa_user_sgpr_kernarg_preload_length 0
		.amdhsa_user_sgpr_kernarg_preload_offset 0
		.amdhsa_user_sgpr_private_segment_size 0
		.amdhsa_wavefront_size32 1
		.amdhsa_uses_dynamic_stack 0
		.amdhsa_enable_private_segment 0
		.amdhsa_system_sgpr_workgroup_id_x 1
		.amdhsa_system_sgpr_workgroup_id_y 0
		.amdhsa_system_sgpr_workgroup_id_z 0
		.amdhsa_system_sgpr_workgroup_info 0
		.amdhsa_system_vgpr_workitem_id 0
		.amdhsa_next_free_vgpr 1
		.amdhsa_next_free_sgpr 1
		.amdhsa_named_barrier_count 0
		.amdhsa_reserve_vcc 0
		.amdhsa_float_round_mode_32 0
		.amdhsa_float_round_mode_16_64 0
		.amdhsa_float_denorm_mode_32 3
		.amdhsa_float_denorm_mode_16_64 3
		.amdhsa_fp16_overflow 0
		.amdhsa_memory_ordered 1
		.amdhsa_forward_progress 1
		.amdhsa_inst_pref_size 0
		.amdhsa_round_robin_scheduling 0
		.amdhsa_exception_fp_ieee_invalid_op 0
		.amdhsa_exception_fp_denorm_src 0
		.amdhsa_exception_fp_ieee_div_zero 0
		.amdhsa_exception_fp_ieee_overflow 0
		.amdhsa_exception_fp_ieee_underflow 0
		.amdhsa_exception_fp_ieee_inexact 0
		.amdhsa_exception_int_div_zero 0
	.end_amdhsa_kernel
	.section	.text._ZN7rocprim17ROCPRIM_400000_NS6detail17trampoline_kernelINS0_14default_configENS1_25transform_config_selectorIjLb1EEEZNS1_14transform_implILb1ES3_S5_PjS7_NS0_8identityIjEEEE10hipError_tT2_T3_mT4_P12ihipStream_tbEUlT_E_NS1_11comp_targetILNS1_3genE4ELNS1_11target_archE910ELNS1_3gpuE8ELNS1_3repE0EEENS1_30default_config_static_selectorELNS0_4arch9wavefront6targetE0EEEvT1_,"axG",@progbits,_ZN7rocprim17ROCPRIM_400000_NS6detail17trampoline_kernelINS0_14default_configENS1_25transform_config_selectorIjLb1EEEZNS1_14transform_implILb1ES3_S5_PjS7_NS0_8identityIjEEEE10hipError_tT2_T3_mT4_P12ihipStream_tbEUlT_E_NS1_11comp_targetILNS1_3genE4ELNS1_11target_archE910ELNS1_3gpuE8ELNS1_3repE0EEENS1_30default_config_static_selectorELNS0_4arch9wavefront6targetE0EEEvT1_,comdat
.Lfunc_end14:
	.size	_ZN7rocprim17ROCPRIM_400000_NS6detail17trampoline_kernelINS0_14default_configENS1_25transform_config_selectorIjLb1EEEZNS1_14transform_implILb1ES3_S5_PjS7_NS0_8identityIjEEEE10hipError_tT2_T3_mT4_P12ihipStream_tbEUlT_E_NS1_11comp_targetILNS1_3genE4ELNS1_11target_archE910ELNS1_3gpuE8ELNS1_3repE0EEENS1_30default_config_static_selectorELNS0_4arch9wavefront6targetE0EEEvT1_, .Lfunc_end14-_ZN7rocprim17ROCPRIM_400000_NS6detail17trampoline_kernelINS0_14default_configENS1_25transform_config_selectorIjLb1EEEZNS1_14transform_implILb1ES3_S5_PjS7_NS0_8identityIjEEEE10hipError_tT2_T3_mT4_P12ihipStream_tbEUlT_E_NS1_11comp_targetILNS1_3genE4ELNS1_11target_archE910ELNS1_3gpuE8ELNS1_3repE0EEENS1_30default_config_static_selectorELNS0_4arch9wavefront6targetE0EEEvT1_
                                        ; -- End function
	.set _ZN7rocprim17ROCPRIM_400000_NS6detail17trampoline_kernelINS0_14default_configENS1_25transform_config_selectorIjLb1EEEZNS1_14transform_implILb1ES3_S5_PjS7_NS0_8identityIjEEEE10hipError_tT2_T3_mT4_P12ihipStream_tbEUlT_E_NS1_11comp_targetILNS1_3genE4ELNS1_11target_archE910ELNS1_3gpuE8ELNS1_3repE0EEENS1_30default_config_static_selectorELNS0_4arch9wavefront6targetE0EEEvT1_.num_vgpr, 0
	.set _ZN7rocprim17ROCPRIM_400000_NS6detail17trampoline_kernelINS0_14default_configENS1_25transform_config_selectorIjLb1EEEZNS1_14transform_implILb1ES3_S5_PjS7_NS0_8identityIjEEEE10hipError_tT2_T3_mT4_P12ihipStream_tbEUlT_E_NS1_11comp_targetILNS1_3genE4ELNS1_11target_archE910ELNS1_3gpuE8ELNS1_3repE0EEENS1_30default_config_static_selectorELNS0_4arch9wavefront6targetE0EEEvT1_.num_agpr, 0
	.set _ZN7rocprim17ROCPRIM_400000_NS6detail17trampoline_kernelINS0_14default_configENS1_25transform_config_selectorIjLb1EEEZNS1_14transform_implILb1ES3_S5_PjS7_NS0_8identityIjEEEE10hipError_tT2_T3_mT4_P12ihipStream_tbEUlT_E_NS1_11comp_targetILNS1_3genE4ELNS1_11target_archE910ELNS1_3gpuE8ELNS1_3repE0EEENS1_30default_config_static_selectorELNS0_4arch9wavefront6targetE0EEEvT1_.numbered_sgpr, 0
	.set _ZN7rocprim17ROCPRIM_400000_NS6detail17trampoline_kernelINS0_14default_configENS1_25transform_config_selectorIjLb1EEEZNS1_14transform_implILb1ES3_S5_PjS7_NS0_8identityIjEEEE10hipError_tT2_T3_mT4_P12ihipStream_tbEUlT_E_NS1_11comp_targetILNS1_3genE4ELNS1_11target_archE910ELNS1_3gpuE8ELNS1_3repE0EEENS1_30default_config_static_selectorELNS0_4arch9wavefront6targetE0EEEvT1_.num_named_barrier, 0
	.set _ZN7rocprim17ROCPRIM_400000_NS6detail17trampoline_kernelINS0_14default_configENS1_25transform_config_selectorIjLb1EEEZNS1_14transform_implILb1ES3_S5_PjS7_NS0_8identityIjEEEE10hipError_tT2_T3_mT4_P12ihipStream_tbEUlT_E_NS1_11comp_targetILNS1_3genE4ELNS1_11target_archE910ELNS1_3gpuE8ELNS1_3repE0EEENS1_30default_config_static_selectorELNS0_4arch9wavefront6targetE0EEEvT1_.private_seg_size, 0
	.set _ZN7rocprim17ROCPRIM_400000_NS6detail17trampoline_kernelINS0_14default_configENS1_25transform_config_selectorIjLb1EEEZNS1_14transform_implILb1ES3_S5_PjS7_NS0_8identityIjEEEE10hipError_tT2_T3_mT4_P12ihipStream_tbEUlT_E_NS1_11comp_targetILNS1_3genE4ELNS1_11target_archE910ELNS1_3gpuE8ELNS1_3repE0EEENS1_30default_config_static_selectorELNS0_4arch9wavefront6targetE0EEEvT1_.uses_vcc, 0
	.set _ZN7rocprim17ROCPRIM_400000_NS6detail17trampoline_kernelINS0_14default_configENS1_25transform_config_selectorIjLb1EEEZNS1_14transform_implILb1ES3_S5_PjS7_NS0_8identityIjEEEE10hipError_tT2_T3_mT4_P12ihipStream_tbEUlT_E_NS1_11comp_targetILNS1_3genE4ELNS1_11target_archE910ELNS1_3gpuE8ELNS1_3repE0EEENS1_30default_config_static_selectorELNS0_4arch9wavefront6targetE0EEEvT1_.uses_flat_scratch, 0
	.set _ZN7rocprim17ROCPRIM_400000_NS6detail17trampoline_kernelINS0_14default_configENS1_25transform_config_selectorIjLb1EEEZNS1_14transform_implILb1ES3_S5_PjS7_NS0_8identityIjEEEE10hipError_tT2_T3_mT4_P12ihipStream_tbEUlT_E_NS1_11comp_targetILNS1_3genE4ELNS1_11target_archE910ELNS1_3gpuE8ELNS1_3repE0EEENS1_30default_config_static_selectorELNS0_4arch9wavefront6targetE0EEEvT1_.has_dyn_sized_stack, 0
	.set _ZN7rocprim17ROCPRIM_400000_NS6detail17trampoline_kernelINS0_14default_configENS1_25transform_config_selectorIjLb1EEEZNS1_14transform_implILb1ES3_S5_PjS7_NS0_8identityIjEEEE10hipError_tT2_T3_mT4_P12ihipStream_tbEUlT_E_NS1_11comp_targetILNS1_3genE4ELNS1_11target_archE910ELNS1_3gpuE8ELNS1_3repE0EEENS1_30default_config_static_selectorELNS0_4arch9wavefront6targetE0EEEvT1_.has_recursion, 0
	.set _ZN7rocprim17ROCPRIM_400000_NS6detail17trampoline_kernelINS0_14default_configENS1_25transform_config_selectorIjLb1EEEZNS1_14transform_implILb1ES3_S5_PjS7_NS0_8identityIjEEEE10hipError_tT2_T3_mT4_P12ihipStream_tbEUlT_E_NS1_11comp_targetILNS1_3genE4ELNS1_11target_archE910ELNS1_3gpuE8ELNS1_3repE0EEENS1_30default_config_static_selectorELNS0_4arch9wavefront6targetE0EEEvT1_.has_indirect_call, 0
	.section	.AMDGPU.csdata,"",@progbits
; Kernel info:
; codeLenInByte = 0
; TotalNumSgprs: 0
; NumVgprs: 0
; ScratchSize: 0
; MemoryBound: 0
; FloatMode: 240
; IeeeMode: 1
; LDSByteSize: 0 bytes/workgroup (compile time only)
; SGPRBlocks: 0
; VGPRBlocks: 0
; NumSGPRsForWavesPerEU: 1
; NumVGPRsForWavesPerEU: 1
; NamedBarCnt: 0
; Occupancy: 16
; WaveLimiterHint : 0
; COMPUTE_PGM_RSRC2:SCRATCH_EN: 0
; COMPUTE_PGM_RSRC2:USER_SGPR: 2
; COMPUTE_PGM_RSRC2:TRAP_HANDLER: 0
; COMPUTE_PGM_RSRC2:TGID_X_EN: 1
; COMPUTE_PGM_RSRC2:TGID_Y_EN: 0
; COMPUTE_PGM_RSRC2:TGID_Z_EN: 0
; COMPUTE_PGM_RSRC2:TIDIG_COMP_CNT: 0
	.section	.text._ZN7rocprim17ROCPRIM_400000_NS6detail17trampoline_kernelINS0_14default_configENS1_25transform_config_selectorIjLb1EEEZNS1_14transform_implILb1ES3_S5_PjS7_NS0_8identityIjEEEE10hipError_tT2_T3_mT4_P12ihipStream_tbEUlT_E_NS1_11comp_targetILNS1_3genE3ELNS1_11target_archE908ELNS1_3gpuE7ELNS1_3repE0EEENS1_30default_config_static_selectorELNS0_4arch9wavefront6targetE0EEEvT1_,"axG",@progbits,_ZN7rocprim17ROCPRIM_400000_NS6detail17trampoline_kernelINS0_14default_configENS1_25transform_config_selectorIjLb1EEEZNS1_14transform_implILb1ES3_S5_PjS7_NS0_8identityIjEEEE10hipError_tT2_T3_mT4_P12ihipStream_tbEUlT_E_NS1_11comp_targetILNS1_3genE3ELNS1_11target_archE908ELNS1_3gpuE7ELNS1_3repE0EEENS1_30default_config_static_selectorELNS0_4arch9wavefront6targetE0EEEvT1_,comdat
	.protected	_ZN7rocprim17ROCPRIM_400000_NS6detail17trampoline_kernelINS0_14default_configENS1_25transform_config_selectorIjLb1EEEZNS1_14transform_implILb1ES3_S5_PjS7_NS0_8identityIjEEEE10hipError_tT2_T3_mT4_P12ihipStream_tbEUlT_E_NS1_11comp_targetILNS1_3genE3ELNS1_11target_archE908ELNS1_3gpuE7ELNS1_3repE0EEENS1_30default_config_static_selectorELNS0_4arch9wavefront6targetE0EEEvT1_ ; -- Begin function _ZN7rocprim17ROCPRIM_400000_NS6detail17trampoline_kernelINS0_14default_configENS1_25transform_config_selectorIjLb1EEEZNS1_14transform_implILb1ES3_S5_PjS7_NS0_8identityIjEEEE10hipError_tT2_T3_mT4_P12ihipStream_tbEUlT_E_NS1_11comp_targetILNS1_3genE3ELNS1_11target_archE908ELNS1_3gpuE7ELNS1_3repE0EEENS1_30default_config_static_selectorELNS0_4arch9wavefront6targetE0EEEvT1_
	.globl	_ZN7rocprim17ROCPRIM_400000_NS6detail17trampoline_kernelINS0_14default_configENS1_25transform_config_selectorIjLb1EEEZNS1_14transform_implILb1ES3_S5_PjS7_NS0_8identityIjEEEE10hipError_tT2_T3_mT4_P12ihipStream_tbEUlT_E_NS1_11comp_targetILNS1_3genE3ELNS1_11target_archE908ELNS1_3gpuE7ELNS1_3repE0EEENS1_30default_config_static_selectorELNS0_4arch9wavefront6targetE0EEEvT1_
	.p2align	8
	.type	_ZN7rocprim17ROCPRIM_400000_NS6detail17trampoline_kernelINS0_14default_configENS1_25transform_config_selectorIjLb1EEEZNS1_14transform_implILb1ES3_S5_PjS7_NS0_8identityIjEEEE10hipError_tT2_T3_mT4_P12ihipStream_tbEUlT_E_NS1_11comp_targetILNS1_3genE3ELNS1_11target_archE908ELNS1_3gpuE7ELNS1_3repE0EEENS1_30default_config_static_selectorELNS0_4arch9wavefront6targetE0EEEvT1_,@function
_ZN7rocprim17ROCPRIM_400000_NS6detail17trampoline_kernelINS0_14default_configENS1_25transform_config_selectorIjLb1EEEZNS1_14transform_implILb1ES3_S5_PjS7_NS0_8identityIjEEEE10hipError_tT2_T3_mT4_P12ihipStream_tbEUlT_E_NS1_11comp_targetILNS1_3genE3ELNS1_11target_archE908ELNS1_3gpuE7ELNS1_3repE0EEENS1_30default_config_static_selectorELNS0_4arch9wavefront6targetE0EEEvT1_: ; @_ZN7rocprim17ROCPRIM_400000_NS6detail17trampoline_kernelINS0_14default_configENS1_25transform_config_selectorIjLb1EEEZNS1_14transform_implILb1ES3_S5_PjS7_NS0_8identityIjEEEE10hipError_tT2_T3_mT4_P12ihipStream_tbEUlT_E_NS1_11comp_targetILNS1_3genE3ELNS1_11target_archE908ELNS1_3gpuE7ELNS1_3repE0EEENS1_30default_config_static_selectorELNS0_4arch9wavefront6targetE0EEEvT1_
; %bb.0:
	.section	.rodata,"a",@progbits
	.p2align	6, 0x0
	.amdhsa_kernel _ZN7rocprim17ROCPRIM_400000_NS6detail17trampoline_kernelINS0_14default_configENS1_25transform_config_selectorIjLb1EEEZNS1_14transform_implILb1ES3_S5_PjS7_NS0_8identityIjEEEE10hipError_tT2_T3_mT4_P12ihipStream_tbEUlT_E_NS1_11comp_targetILNS1_3genE3ELNS1_11target_archE908ELNS1_3gpuE7ELNS1_3repE0EEENS1_30default_config_static_selectorELNS0_4arch9wavefront6targetE0EEEvT1_
		.amdhsa_group_segment_fixed_size 0
		.amdhsa_private_segment_fixed_size 0
		.amdhsa_kernarg_size 40
		.amdhsa_user_sgpr_count 2
		.amdhsa_user_sgpr_dispatch_ptr 0
		.amdhsa_user_sgpr_queue_ptr 0
		.amdhsa_user_sgpr_kernarg_segment_ptr 1
		.amdhsa_user_sgpr_dispatch_id 0
		.amdhsa_user_sgpr_kernarg_preload_length 0
		.amdhsa_user_sgpr_kernarg_preload_offset 0
		.amdhsa_user_sgpr_private_segment_size 0
		.amdhsa_wavefront_size32 1
		.amdhsa_uses_dynamic_stack 0
		.amdhsa_enable_private_segment 0
		.amdhsa_system_sgpr_workgroup_id_x 1
		.amdhsa_system_sgpr_workgroup_id_y 0
		.amdhsa_system_sgpr_workgroup_id_z 0
		.amdhsa_system_sgpr_workgroup_info 0
		.amdhsa_system_vgpr_workitem_id 0
		.amdhsa_next_free_vgpr 1
		.amdhsa_next_free_sgpr 1
		.amdhsa_named_barrier_count 0
		.amdhsa_reserve_vcc 0
		.amdhsa_float_round_mode_32 0
		.amdhsa_float_round_mode_16_64 0
		.amdhsa_float_denorm_mode_32 3
		.amdhsa_float_denorm_mode_16_64 3
		.amdhsa_fp16_overflow 0
		.amdhsa_memory_ordered 1
		.amdhsa_forward_progress 1
		.amdhsa_inst_pref_size 0
		.amdhsa_round_robin_scheduling 0
		.amdhsa_exception_fp_ieee_invalid_op 0
		.amdhsa_exception_fp_denorm_src 0
		.amdhsa_exception_fp_ieee_div_zero 0
		.amdhsa_exception_fp_ieee_overflow 0
		.amdhsa_exception_fp_ieee_underflow 0
		.amdhsa_exception_fp_ieee_inexact 0
		.amdhsa_exception_int_div_zero 0
	.end_amdhsa_kernel
	.section	.text._ZN7rocprim17ROCPRIM_400000_NS6detail17trampoline_kernelINS0_14default_configENS1_25transform_config_selectorIjLb1EEEZNS1_14transform_implILb1ES3_S5_PjS7_NS0_8identityIjEEEE10hipError_tT2_T3_mT4_P12ihipStream_tbEUlT_E_NS1_11comp_targetILNS1_3genE3ELNS1_11target_archE908ELNS1_3gpuE7ELNS1_3repE0EEENS1_30default_config_static_selectorELNS0_4arch9wavefront6targetE0EEEvT1_,"axG",@progbits,_ZN7rocprim17ROCPRIM_400000_NS6detail17trampoline_kernelINS0_14default_configENS1_25transform_config_selectorIjLb1EEEZNS1_14transform_implILb1ES3_S5_PjS7_NS0_8identityIjEEEE10hipError_tT2_T3_mT4_P12ihipStream_tbEUlT_E_NS1_11comp_targetILNS1_3genE3ELNS1_11target_archE908ELNS1_3gpuE7ELNS1_3repE0EEENS1_30default_config_static_selectorELNS0_4arch9wavefront6targetE0EEEvT1_,comdat
.Lfunc_end15:
	.size	_ZN7rocprim17ROCPRIM_400000_NS6detail17trampoline_kernelINS0_14default_configENS1_25transform_config_selectorIjLb1EEEZNS1_14transform_implILb1ES3_S5_PjS7_NS0_8identityIjEEEE10hipError_tT2_T3_mT4_P12ihipStream_tbEUlT_E_NS1_11comp_targetILNS1_3genE3ELNS1_11target_archE908ELNS1_3gpuE7ELNS1_3repE0EEENS1_30default_config_static_selectorELNS0_4arch9wavefront6targetE0EEEvT1_, .Lfunc_end15-_ZN7rocprim17ROCPRIM_400000_NS6detail17trampoline_kernelINS0_14default_configENS1_25transform_config_selectorIjLb1EEEZNS1_14transform_implILb1ES3_S5_PjS7_NS0_8identityIjEEEE10hipError_tT2_T3_mT4_P12ihipStream_tbEUlT_E_NS1_11comp_targetILNS1_3genE3ELNS1_11target_archE908ELNS1_3gpuE7ELNS1_3repE0EEENS1_30default_config_static_selectorELNS0_4arch9wavefront6targetE0EEEvT1_
                                        ; -- End function
	.set _ZN7rocprim17ROCPRIM_400000_NS6detail17trampoline_kernelINS0_14default_configENS1_25transform_config_selectorIjLb1EEEZNS1_14transform_implILb1ES3_S5_PjS7_NS0_8identityIjEEEE10hipError_tT2_T3_mT4_P12ihipStream_tbEUlT_E_NS1_11comp_targetILNS1_3genE3ELNS1_11target_archE908ELNS1_3gpuE7ELNS1_3repE0EEENS1_30default_config_static_selectorELNS0_4arch9wavefront6targetE0EEEvT1_.num_vgpr, 0
	.set _ZN7rocprim17ROCPRIM_400000_NS6detail17trampoline_kernelINS0_14default_configENS1_25transform_config_selectorIjLb1EEEZNS1_14transform_implILb1ES3_S5_PjS7_NS0_8identityIjEEEE10hipError_tT2_T3_mT4_P12ihipStream_tbEUlT_E_NS1_11comp_targetILNS1_3genE3ELNS1_11target_archE908ELNS1_3gpuE7ELNS1_3repE0EEENS1_30default_config_static_selectorELNS0_4arch9wavefront6targetE0EEEvT1_.num_agpr, 0
	.set _ZN7rocprim17ROCPRIM_400000_NS6detail17trampoline_kernelINS0_14default_configENS1_25transform_config_selectorIjLb1EEEZNS1_14transform_implILb1ES3_S5_PjS7_NS0_8identityIjEEEE10hipError_tT2_T3_mT4_P12ihipStream_tbEUlT_E_NS1_11comp_targetILNS1_3genE3ELNS1_11target_archE908ELNS1_3gpuE7ELNS1_3repE0EEENS1_30default_config_static_selectorELNS0_4arch9wavefront6targetE0EEEvT1_.numbered_sgpr, 0
	.set _ZN7rocprim17ROCPRIM_400000_NS6detail17trampoline_kernelINS0_14default_configENS1_25transform_config_selectorIjLb1EEEZNS1_14transform_implILb1ES3_S5_PjS7_NS0_8identityIjEEEE10hipError_tT2_T3_mT4_P12ihipStream_tbEUlT_E_NS1_11comp_targetILNS1_3genE3ELNS1_11target_archE908ELNS1_3gpuE7ELNS1_3repE0EEENS1_30default_config_static_selectorELNS0_4arch9wavefront6targetE0EEEvT1_.num_named_barrier, 0
	.set _ZN7rocprim17ROCPRIM_400000_NS6detail17trampoline_kernelINS0_14default_configENS1_25transform_config_selectorIjLb1EEEZNS1_14transform_implILb1ES3_S5_PjS7_NS0_8identityIjEEEE10hipError_tT2_T3_mT4_P12ihipStream_tbEUlT_E_NS1_11comp_targetILNS1_3genE3ELNS1_11target_archE908ELNS1_3gpuE7ELNS1_3repE0EEENS1_30default_config_static_selectorELNS0_4arch9wavefront6targetE0EEEvT1_.private_seg_size, 0
	.set _ZN7rocprim17ROCPRIM_400000_NS6detail17trampoline_kernelINS0_14default_configENS1_25transform_config_selectorIjLb1EEEZNS1_14transform_implILb1ES3_S5_PjS7_NS0_8identityIjEEEE10hipError_tT2_T3_mT4_P12ihipStream_tbEUlT_E_NS1_11comp_targetILNS1_3genE3ELNS1_11target_archE908ELNS1_3gpuE7ELNS1_3repE0EEENS1_30default_config_static_selectorELNS0_4arch9wavefront6targetE0EEEvT1_.uses_vcc, 0
	.set _ZN7rocprim17ROCPRIM_400000_NS6detail17trampoline_kernelINS0_14default_configENS1_25transform_config_selectorIjLb1EEEZNS1_14transform_implILb1ES3_S5_PjS7_NS0_8identityIjEEEE10hipError_tT2_T3_mT4_P12ihipStream_tbEUlT_E_NS1_11comp_targetILNS1_3genE3ELNS1_11target_archE908ELNS1_3gpuE7ELNS1_3repE0EEENS1_30default_config_static_selectorELNS0_4arch9wavefront6targetE0EEEvT1_.uses_flat_scratch, 0
	.set _ZN7rocprim17ROCPRIM_400000_NS6detail17trampoline_kernelINS0_14default_configENS1_25transform_config_selectorIjLb1EEEZNS1_14transform_implILb1ES3_S5_PjS7_NS0_8identityIjEEEE10hipError_tT2_T3_mT4_P12ihipStream_tbEUlT_E_NS1_11comp_targetILNS1_3genE3ELNS1_11target_archE908ELNS1_3gpuE7ELNS1_3repE0EEENS1_30default_config_static_selectorELNS0_4arch9wavefront6targetE0EEEvT1_.has_dyn_sized_stack, 0
	.set _ZN7rocprim17ROCPRIM_400000_NS6detail17trampoline_kernelINS0_14default_configENS1_25transform_config_selectorIjLb1EEEZNS1_14transform_implILb1ES3_S5_PjS7_NS0_8identityIjEEEE10hipError_tT2_T3_mT4_P12ihipStream_tbEUlT_E_NS1_11comp_targetILNS1_3genE3ELNS1_11target_archE908ELNS1_3gpuE7ELNS1_3repE0EEENS1_30default_config_static_selectorELNS0_4arch9wavefront6targetE0EEEvT1_.has_recursion, 0
	.set _ZN7rocprim17ROCPRIM_400000_NS6detail17trampoline_kernelINS0_14default_configENS1_25transform_config_selectorIjLb1EEEZNS1_14transform_implILb1ES3_S5_PjS7_NS0_8identityIjEEEE10hipError_tT2_T3_mT4_P12ihipStream_tbEUlT_E_NS1_11comp_targetILNS1_3genE3ELNS1_11target_archE908ELNS1_3gpuE7ELNS1_3repE0EEENS1_30default_config_static_selectorELNS0_4arch9wavefront6targetE0EEEvT1_.has_indirect_call, 0
	.section	.AMDGPU.csdata,"",@progbits
; Kernel info:
; codeLenInByte = 0
; TotalNumSgprs: 0
; NumVgprs: 0
; ScratchSize: 0
; MemoryBound: 0
; FloatMode: 240
; IeeeMode: 1
; LDSByteSize: 0 bytes/workgroup (compile time only)
; SGPRBlocks: 0
; VGPRBlocks: 0
; NumSGPRsForWavesPerEU: 1
; NumVGPRsForWavesPerEU: 1
; NamedBarCnt: 0
; Occupancy: 16
; WaveLimiterHint : 0
; COMPUTE_PGM_RSRC2:SCRATCH_EN: 0
; COMPUTE_PGM_RSRC2:USER_SGPR: 2
; COMPUTE_PGM_RSRC2:TRAP_HANDLER: 0
; COMPUTE_PGM_RSRC2:TGID_X_EN: 1
; COMPUTE_PGM_RSRC2:TGID_Y_EN: 0
; COMPUTE_PGM_RSRC2:TGID_Z_EN: 0
; COMPUTE_PGM_RSRC2:TIDIG_COMP_CNT: 0
	.section	.text._ZN7rocprim17ROCPRIM_400000_NS6detail17trampoline_kernelINS0_14default_configENS1_25transform_config_selectorIjLb1EEEZNS1_14transform_implILb1ES3_S5_PjS7_NS0_8identityIjEEEE10hipError_tT2_T3_mT4_P12ihipStream_tbEUlT_E_NS1_11comp_targetILNS1_3genE2ELNS1_11target_archE906ELNS1_3gpuE6ELNS1_3repE0EEENS1_30default_config_static_selectorELNS0_4arch9wavefront6targetE0EEEvT1_,"axG",@progbits,_ZN7rocprim17ROCPRIM_400000_NS6detail17trampoline_kernelINS0_14default_configENS1_25transform_config_selectorIjLb1EEEZNS1_14transform_implILb1ES3_S5_PjS7_NS0_8identityIjEEEE10hipError_tT2_T3_mT4_P12ihipStream_tbEUlT_E_NS1_11comp_targetILNS1_3genE2ELNS1_11target_archE906ELNS1_3gpuE6ELNS1_3repE0EEENS1_30default_config_static_selectorELNS0_4arch9wavefront6targetE0EEEvT1_,comdat
	.protected	_ZN7rocprim17ROCPRIM_400000_NS6detail17trampoline_kernelINS0_14default_configENS1_25transform_config_selectorIjLb1EEEZNS1_14transform_implILb1ES3_S5_PjS7_NS0_8identityIjEEEE10hipError_tT2_T3_mT4_P12ihipStream_tbEUlT_E_NS1_11comp_targetILNS1_3genE2ELNS1_11target_archE906ELNS1_3gpuE6ELNS1_3repE0EEENS1_30default_config_static_selectorELNS0_4arch9wavefront6targetE0EEEvT1_ ; -- Begin function _ZN7rocprim17ROCPRIM_400000_NS6detail17trampoline_kernelINS0_14default_configENS1_25transform_config_selectorIjLb1EEEZNS1_14transform_implILb1ES3_S5_PjS7_NS0_8identityIjEEEE10hipError_tT2_T3_mT4_P12ihipStream_tbEUlT_E_NS1_11comp_targetILNS1_3genE2ELNS1_11target_archE906ELNS1_3gpuE6ELNS1_3repE0EEENS1_30default_config_static_selectorELNS0_4arch9wavefront6targetE0EEEvT1_
	.globl	_ZN7rocprim17ROCPRIM_400000_NS6detail17trampoline_kernelINS0_14default_configENS1_25transform_config_selectorIjLb1EEEZNS1_14transform_implILb1ES3_S5_PjS7_NS0_8identityIjEEEE10hipError_tT2_T3_mT4_P12ihipStream_tbEUlT_E_NS1_11comp_targetILNS1_3genE2ELNS1_11target_archE906ELNS1_3gpuE6ELNS1_3repE0EEENS1_30default_config_static_selectorELNS0_4arch9wavefront6targetE0EEEvT1_
	.p2align	8
	.type	_ZN7rocprim17ROCPRIM_400000_NS6detail17trampoline_kernelINS0_14default_configENS1_25transform_config_selectorIjLb1EEEZNS1_14transform_implILb1ES3_S5_PjS7_NS0_8identityIjEEEE10hipError_tT2_T3_mT4_P12ihipStream_tbEUlT_E_NS1_11comp_targetILNS1_3genE2ELNS1_11target_archE906ELNS1_3gpuE6ELNS1_3repE0EEENS1_30default_config_static_selectorELNS0_4arch9wavefront6targetE0EEEvT1_,@function
_ZN7rocprim17ROCPRIM_400000_NS6detail17trampoline_kernelINS0_14default_configENS1_25transform_config_selectorIjLb1EEEZNS1_14transform_implILb1ES3_S5_PjS7_NS0_8identityIjEEEE10hipError_tT2_T3_mT4_P12ihipStream_tbEUlT_E_NS1_11comp_targetILNS1_3genE2ELNS1_11target_archE906ELNS1_3gpuE6ELNS1_3repE0EEENS1_30default_config_static_selectorELNS0_4arch9wavefront6targetE0EEEvT1_: ; @_ZN7rocprim17ROCPRIM_400000_NS6detail17trampoline_kernelINS0_14default_configENS1_25transform_config_selectorIjLb1EEEZNS1_14transform_implILb1ES3_S5_PjS7_NS0_8identityIjEEEE10hipError_tT2_T3_mT4_P12ihipStream_tbEUlT_E_NS1_11comp_targetILNS1_3genE2ELNS1_11target_archE906ELNS1_3gpuE6ELNS1_3repE0EEENS1_30default_config_static_selectorELNS0_4arch9wavefront6targetE0EEEvT1_
; %bb.0:
	.section	.rodata,"a",@progbits
	.p2align	6, 0x0
	.amdhsa_kernel _ZN7rocprim17ROCPRIM_400000_NS6detail17trampoline_kernelINS0_14default_configENS1_25transform_config_selectorIjLb1EEEZNS1_14transform_implILb1ES3_S5_PjS7_NS0_8identityIjEEEE10hipError_tT2_T3_mT4_P12ihipStream_tbEUlT_E_NS1_11comp_targetILNS1_3genE2ELNS1_11target_archE906ELNS1_3gpuE6ELNS1_3repE0EEENS1_30default_config_static_selectorELNS0_4arch9wavefront6targetE0EEEvT1_
		.amdhsa_group_segment_fixed_size 0
		.amdhsa_private_segment_fixed_size 0
		.amdhsa_kernarg_size 40
		.amdhsa_user_sgpr_count 2
		.amdhsa_user_sgpr_dispatch_ptr 0
		.amdhsa_user_sgpr_queue_ptr 0
		.amdhsa_user_sgpr_kernarg_segment_ptr 1
		.amdhsa_user_sgpr_dispatch_id 0
		.amdhsa_user_sgpr_kernarg_preload_length 0
		.amdhsa_user_sgpr_kernarg_preload_offset 0
		.amdhsa_user_sgpr_private_segment_size 0
		.amdhsa_wavefront_size32 1
		.amdhsa_uses_dynamic_stack 0
		.amdhsa_enable_private_segment 0
		.amdhsa_system_sgpr_workgroup_id_x 1
		.amdhsa_system_sgpr_workgroup_id_y 0
		.amdhsa_system_sgpr_workgroup_id_z 0
		.amdhsa_system_sgpr_workgroup_info 0
		.amdhsa_system_vgpr_workitem_id 0
		.amdhsa_next_free_vgpr 1
		.amdhsa_next_free_sgpr 1
		.amdhsa_named_barrier_count 0
		.amdhsa_reserve_vcc 0
		.amdhsa_float_round_mode_32 0
		.amdhsa_float_round_mode_16_64 0
		.amdhsa_float_denorm_mode_32 3
		.amdhsa_float_denorm_mode_16_64 3
		.amdhsa_fp16_overflow 0
		.amdhsa_memory_ordered 1
		.amdhsa_forward_progress 1
		.amdhsa_inst_pref_size 0
		.amdhsa_round_robin_scheduling 0
		.amdhsa_exception_fp_ieee_invalid_op 0
		.amdhsa_exception_fp_denorm_src 0
		.amdhsa_exception_fp_ieee_div_zero 0
		.amdhsa_exception_fp_ieee_overflow 0
		.amdhsa_exception_fp_ieee_underflow 0
		.amdhsa_exception_fp_ieee_inexact 0
		.amdhsa_exception_int_div_zero 0
	.end_amdhsa_kernel
	.section	.text._ZN7rocprim17ROCPRIM_400000_NS6detail17trampoline_kernelINS0_14default_configENS1_25transform_config_selectorIjLb1EEEZNS1_14transform_implILb1ES3_S5_PjS7_NS0_8identityIjEEEE10hipError_tT2_T3_mT4_P12ihipStream_tbEUlT_E_NS1_11comp_targetILNS1_3genE2ELNS1_11target_archE906ELNS1_3gpuE6ELNS1_3repE0EEENS1_30default_config_static_selectorELNS0_4arch9wavefront6targetE0EEEvT1_,"axG",@progbits,_ZN7rocprim17ROCPRIM_400000_NS6detail17trampoline_kernelINS0_14default_configENS1_25transform_config_selectorIjLb1EEEZNS1_14transform_implILb1ES3_S5_PjS7_NS0_8identityIjEEEE10hipError_tT2_T3_mT4_P12ihipStream_tbEUlT_E_NS1_11comp_targetILNS1_3genE2ELNS1_11target_archE906ELNS1_3gpuE6ELNS1_3repE0EEENS1_30default_config_static_selectorELNS0_4arch9wavefront6targetE0EEEvT1_,comdat
.Lfunc_end16:
	.size	_ZN7rocprim17ROCPRIM_400000_NS6detail17trampoline_kernelINS0_14default_configENS1_25transform_config_selectorIjLb1EEEZNS1_14transform_implILb1ES3_S5_PjS7_NS0_8identityIjEEEE10hipError_tT2_T3_mT4_P12ihipStream_tbEUlT_E_NS1_11comp_targetILNS1_3genE2ELNS1_11target_archE906ELNS1_3gpuE6ELNS1_3repE0EEENS1_30default_config_static_selectorELNS0_4arch9wavefront6targetE0EEEvT1_, .Lfunc_end16-_ZN7rocprim17ROCPRIM_400000_NS6detail17trampoline_kernelINS0_14default_configENS1_25transform_config_selectorIjLb1EEEZNS1_14transform_implILb1ES3_S5_PjS7_NS0_8identityIjEEEE10hipError_tT2_T3_mT4_P12ihipStream_tbEUlT_E_NS1_11comp_targetILNS1_3genE2ELNS1_11target_archE906ELNS1_3gpuE6ELNS1_3repE0EEENS1_30default_config_static_selectorELNS0_4arch9wavefront6targetE0EEEvT1_
                                        ; -- End function
	.set _ZN7rocprim17ROCPRIM_400000_NS6detail17trampoline_kernelINS0_14default_configENS1_25transform_config_selectorIjLb1EEEZNS1_14transform_implILb1ES3_S5_PjS7_NS0_8identityIjEEEE10hipError_tT2_T3_mT4_P12ihipStream_tbEUlT_E_NS1_11comp_targetILNS1_3genE2ELNS1_11target_archE906ELNS1_3gpuE6ELNS1_3repE0EEENS1_30default_config_static_selectorELNS0_4arch9wavefront6targetE0EEEvT1_.num_vgpr, 0
	.set _ZN7rocprim17ROCPRIM_400000_NS6detail17trampoline_kernelINS0_14default_configENS1_25transform_config_selectorIjLb1EEEZNS1_14transform_implILb1ES3_S5_PjS7_NS0_8identityIjEEEE10hipError_tT2_T3_mT4_P12ihipStream_tbEUlT_E_NS1_11comp_targetILNS1_3genE2ELNS1_11target_archE906ELNS1_3gpuE6ELNS1_3repE0EEENS1_30default_config_static_selectorELNS0_4arch9wavefront6targetE0EEEvT1_.num_agpr, 0
	.set _ZN7rocprim17ROCPRIM_400000_NS6detail17trampoline_kernelINS0_14default_configENS1_25transform_config_selectorIjLb1EEEZNS1_14transform_implILb1ES3_S5_PjS7_NS0_8identityIjEEEE10hipError_tT2_T3_mT4_P12ihipStream_tbEUlT_E_NS1_11comp_targetILNS1_3genE2ELNS1_11target_archE906ELNS1_3gpuE6ELNS1_3repE0EEENS1_30default_config_static_selectorELNS0_4arch9wavefront6targetE0EEEvT1_.numbered_sgpr, 0
	.set _ZN7rocprim17ROCPRIM_400000_NS6detail17trampoline_kernelINS0_14default_configENS1_25transform_config_selectorIjLb1EEEZNS1_14transform_implILb1ES3_S5_PjS7_NS0_8identityIjEEEE10hipError_tT2_T3_mT4_P12ihipStream_tbEUlT_E_NS1_11comp_targetILNS1_3genE2ELNS1_11target_archE906ELNS1_3gpuE6ELNS1_3repE0EEENS1_30default_config_static_selectorELNS0_4arch9wavefront6targetE0EEEvT1_.num_named_barrier, 0
	.set _ZN7rocprim17ROCPRIM_400000_NS6detail17trampoline_kernelINS0_14default_configENS1_25transform_config_selectorIjLb1EEEZNS1_14transform_implILb1ES3_S5_PjS7_NS0_8identityIjEEEE10hipError_tT2_T3_mT4_P12ihipStream_tbEUlT_E_NS1_11comp_targetILNS1_3genE2ELNS1_11target_archE906ELNS1_3gpuE6ELNS1_3repE0EEENS1_30default_config_static_selectorELNS0_4arch9wavefront6targetE0EEEvT1_.private_seg_size, 0
	.set _ZN7rocprim17ROCPRIM_400000_NS6detail17trampoline_kernelINS0_14default_configENS1_25transform_config_selectorIjLb1EEEZNS1_14transform_implILb1ES3_S5_PjS7_NS0_8identityIjEEEE10hipError_tT2_T3_mT4_P12ihipStream_tbEUlT_E_NS1_11comp_targetILNS1_3genE2ELNS1_11target_archE906ELNS1_3gpuE6ELNS1_3repE0EEENS1_30default_config_static_selectorELNS0_4arch9wavefront6targetE0EEEvT1_.uses_vcc, 0
	.set _ZN7rocprim17ROCPRIM_400000_NS6detail17trampoline_kernelINS0_14default_configENS1_25transform_config_selectorIjLb1EEEZNS1_14transform_implILb1ES3_S5_PjS7_NS0_8identityIjEEEE10hipError_tT2_T3_mT4_P12ihipStream_tbEUlT_E_NS1_11comp_targetILNS1_3genE2ELNS1_11target_archE906ELNS1_3gpuE6ELNS1_3repE0EEENS1_30default_config_static_selectorELNS0_4arch9wavefront6targetE0EEEvT1_.uses_flat_scratch, 0
	.set _ZN7rocprim17ROCPRIM_400000_NS6detail17trampoline_kernelINS0_14default_configENS1_25transform_config_selectorIjLb1EEEZNS1_14transform_implILb1ES3_S5_PjS7_NS0_8identityIjEEEE10hipError_tT2_T3_mT4_P12ihipStream_tbEUlT_E_NS1_11comp_targetILNS1_3genE2ELNS1_11target_archE906ELNS1_3gpuE6ELNS1_3repE0EEENS1_30default_config_static_selectorELNS0_4arch9wavefront6targetE0EEEvT1_.has_dyn_sized_stack, 0
	.set _ZN7rocprim17ROCPRIM_400000_NS6detail17trampoline_kernelINS0_14default_configENS1_25transform_config_selectorIjLb1EEEZNS1_14transform_implILb1ES3_S5_PjS7_NS0_8identityIjEEEE10hipError_tT2_T3_mT4_P12ihipStream_tbEUlT_E_NS1_11comp_targetILNS1_3genE2ELNS1_11target_archE906ELNS1_3gpuE6ELNS1_3repE0EEENS1_30default_config_static_selectorELNS0_4arch9wavefront6targetE0EEEvT1_.has_recursion, 0
	.set _ZN7rocprim17ROCPRIM_400000_NS6detail17trampoline_kernelINS0_14default_configENS1_25transform_config_selectorIjLb1EEEZNS1_14transform_implILb1ES3_S5_PjS7_NS0_8identityIjEEEE10hipError_tT2_T3_mT4_P12ihipStream_tbEUlT_E_NS1_11comp_targetILNS1_3genE2ELNS1_11target_archE906ELNS1_3gpuE6ELNS1_3repE0EEENS1_30default_config_static_selectorELNS0_4arch9wavefront6targetE0EEEvT1_.has_indirect_call, 0
	.section	.AMDGPU.csdata,"",@progbits
; Kernel info:
; codeLenInByte = 0
; TotalNumSgprs: 0
; NumVgprs: 0
; ScratchSize: 0
; MemoryBound: 0
; FloatMode: 240
; IeeeMode: 1
; LDSByteSize: 0 bytes/workgroup (compile time only)
; SGPRBlocks: 0
; VGPRBlocks: 0
; NumSGPRsForWavesPerEU: 1
; NumVGPRsForWavesPerEU: 1
; NamedBarCnt: 0
; Occupancy: 16
; WaveLimiterHint : 0
; COMPUTE_PGM_RSRC2:SCRATCH_EN: 0
; COMPUTE_PGM_RSRC2:USER_SGPR: 2
; COMPUTE_PGM_RSRC2:TRAP_HANDLER: 0
; COMPUTE_PGM_RSRC2:TGID_X_EN: 1
; COMPUTE_PGM_RSRC2:TGID_Y_EN: 0
; COMPUTE_PGM_RSRC2:TGID_Z_EN: 0
; COMPUTE_PGM_RSRC2:TIDIG_COMP_CNT: 0
	.section	.text._ZN7rocprim17ROCPRIM_400000_NS6detail17trampoline_kernelINS0_14default_configENS1_25transform_config_selectorIjLb1EEEZNS1_14transform_implILb1ES3_S5_PjS7_NS0_8identityIjEEEE10hipError_tT2_T3_mT4_P12ihipStream_tbEUlT_E_NS1_11comp_targetILNS1_3genE9ELNS1_11target_archE1100ELNS1_3gpuE3ELNS1_3repE0EEENS1_30default_config_static_selectorELNS0_4arch9wavefront6targetE0EEEvT1_,"axG",@progbits,_ZN7rocprim17ROCPRIM_400000_NS6detail17trampoline_kernelINS0_14default_configENS1_25transform_config_selectorIjLb1EEEZNS1_14transform_implILb1ES3_S5_PjS7_NS0_8identityIjEEEE10hipError_tT2_T3_mT4_P12ihipStream_tbEUlT_E_NS1_11comp_targetILNS1_3genE9ELNS1_11target_archE1100ELNS1_3gpuE3ELNS1_3repE0EEENS1_30default_config_static_selectorELNS0_4arch9wavefront6targetE0EEEvT1_,comdat
	.protected	_ZN7rocprim17ROCPRIM_400000_NS6detail17trampoline_kernelINS0_14default_configENS1_25transform_config_selectorIjLb1EEEZNS1_14transform_implILb1ES3_S5_PjS7_NS0_8identityIjEEEE10hipError_tT2_T3_mT4_P12ihipStream_tbEUlT_E_NS1_11comp_targetILNS1_3genE9ELNS1_11target_archE1100ELNS1_3gpuE3ELNS1_3repE0EEENS1_30default_config_static_selectorELNS0_4arch9wavefront6targetE0EEEvT1_ ; -- Begin function _ZN7rocprim17ROCPRIM_400000_NS6detail17trampoline_kernelINS0_14default_configENS1_25transform_config_selectorIjLb1EEEZNS1_14transform_implILb1ES3_S5_PjS7_NS0_8identityIjEEEE10hipError_tT2_T3_mT4_P12ihipStream_tbEUlT_E_NS1_11comp_targetILNS1_3genE9ELNS1_11target_archE1100ELNS1_3gpuE3ELNS1_3repE0EEENS1_30default_config_static_selectorELNS0_4arch9wavefront6targetE0EEEvT1_
	.globl	_ZN7rocprim17ROCPRIM_400000_NS6detail17trampoline_kernelINS0_14default_configENS1_25transform_config_selectorIjLb1EEEZNS1_14transform_implILb1ES3_S5_PjS7_NS0_8identityIjEEEE10hipError_tT2_T3_mT4_P12ihipStream_tbEUlT_E_NS1_11comp_targetILNS1_3genE9ELNS1_11target_archE1100ELNS1_3gpuE3ELNS1_3repE0EEENS1_30default_config_static_selectorELNS0_4arch9wavefront6targetE0EEEvT1_
	.p2align	8
	.type	_ZN7rocprim17ROCPRIM_400000_NS6detail17trampoline_kernelINS0_14default_configENS1_25transform_config_selectorIjLb1EEEZNS1_14transform_implILb1ES3_S5_PjS7_NS0_8identityIjEEEE10hipError_tT2_T3_mT4_P12ihipStream_tbEUlT_E_NS1_11comp_targetILNS1_3genE9ELNS1_11target_archE1100ELNS1_3gpuE3ELNS1_3repE0EEENS1_30default_config_static_selectorELNS0_4arch9wavefront6targetE0EEEvT1_,@function
_ZN7rocprim17ROCPRIM_400000_NS6detail17trampoline_kernelINS0_14default_configENS1_25transform_config_selectorIjLb1EEEZNS1_14transform_implILb1ES3_S5_PjS7_NS0_8identityIjEEEE10hipError_tT2_T3_mT4_P12ihipStream_tbEUlT_E_NS1_11comp_targetILNS1_3genE9ELNS1_11target_archE1100ELNS1_3gpuE3ELNS1_3repE0EEENS1_30default_config_static_selectorELNS0_4arch9wavefront6targetE0EEEvT1_: ; @_ZN7rocprim17ROCPRIM_400000_NS6detail17trampoline_kernelINS0_14default_configENS1_25transform_config_selectorIjLb1EEEZNS1_14transform_implILb1ES3_S5_PjS7_NS0_8identityIjEEEE10hipError_tT2_T3_mT4_P12ihipStream_tbEUlT_E_NS1_11comp_targetILNS1_3genE9ELNS1_11target_archE1100ELNS1_3gpuE3ELNS1_3repE0EEENS1_30default_config_static_selectorELNS0_4arch9wavefront6targetE0EEEvT1_
; %bb.0:
	.section	.rodata,"a",@progbits
	.p2align	6, 0x0
	.amdhsa_kernel _ZN7rocprim17ROCPRIM_400000_NS6detail17trampoline_kernelINS0_14default_configENS1_25transform_config_selectorIjLb1EEEZNS1_14transform_implILb1ES3_S5_PjS7_NS0_8identityIjEEEE10hipError_tT2_T3_mT4_P12ihipStream_tbEUlT_E_NS1_11comp_targetILNS1_3genE9ELNS1_11target_archE1100ELNS1_3gpuE3ELNS1_3repE0EEENS1_30default_config_static_selectorELNS0_4arch9wavefront6targetE0EEEvT1_
		.amdhsa_group_segment_fixed_size 0
		.amdhsa_private_segment_fixed_size 0
		.amdhsa_kernarg_size 40
		.amdhsa_user_sgpr_count 2
		.amdhsa_user_sgpr_dispatch_ptr 0
		.amdhsa_user_sgpr_queue_ptr 0
		.amdhsa_user_sgpr_kernarg_segment_ptr 1
		.amdhsa_user_sgpr_dispatch_id 0
		.amdhsa_user_sgpr_kernarg_preload_length 0
		.amdhsa_user_sgpr_kernarg_preload_offset 0
		.amdhsa_user_sgpr_private_segment_size 0
		.amdhsa_wavefront_size32 1
		.amdhsa_uses_dynamic_stack 0
		.amdhsa_enable_private_segment 0
		.amdhsa_system_sgpr_workgroup_id_x 1
		.amdhsa_system_sgpr_workgroup_id_y 0
		.amdhsa_system_sgpr_workgroup_id_z 0
		.amdhsa_system_sgpr_workgroup_info 0
		.amdhsa_system_vgpr_workitem_id 0
		.amdhsa_next_free_vgpr 1
		.amdhsa_next_free_sgpr 1
		.amdhsa_named_barrier_count 0
		.amdhsa_reserve_vcc 0
		.amdhsa_float_round_mode_32 0
		.amdhsa_float_round_mode_16_64 0
		.amdhsa_float_denorm_mode_32 3
		.amdhsa_float_denorm_mode_16_64 3
		.amdhsa_fp16_overflow 0
		.amdhsa_memory_ordered 1
		.amdhsa_forward_progress 1
		.amdhsa_inst_pref_size 0
		.amdhsa_round_robin_scheduling 0
		.amdhsa_exception_fp_ieee_invalid_op 0
		.amdhsa_exception_fp_denorm_src 0
		.amdhsa_exception_fp_ieee_div_zero 0
		.amdhsa_exception_fp_ieee_overflow 0
		.amdhsa_exception_fp_ieee_underflow 0
		.amdhsa_exception_fp_ieee_inexact 0
		.amdhsa_exception_int_div_zero 0
	.end_amdhsa_kernel
	.section	.text._ZN7rocprim17ROCPRIM_400000_NS6detail17trampoline_kernelINS0_14default_configENS1_25transform_config_selectorIjLb1EEEZNS1_14transform_implILb1ES3_S5_PjS7_NS0_8identityIjEEEE10hipError_tT2_T3_mT4_P12ihipStream_tbEUlT_E_NS1_11comp_targetILNS1_3genE9ELNS1_11target_archE1100ELNS1_3gpuE3ELNS1_3repE0EEENS1_30default_config_static_selectorELNS0_4arch9wavefront6targetE0EEEvT1_,"axG",@progbits,_ZN7rocprim17ROCPRIM_400000_NS6detail17trampoline_kernelINS0_14default_configENS1_25transform_config_selectorIjLb1EEEZNS1_14transform_implILb1ES3_S5_PjS7_NS0_8identityIjEEEE10hipError_tT2_T3_mT4_P12ihipStream_tbEUlT_E_NS1_11comp_targetILNS1_3genE9ELNS1_11target_archE1100ELNS1_3gpuE3ELNS1_3repE0EEENS1_30default_config_static_selectorELNS0_4arch9wavefront6targetE0EEEvT1_,comdat
.Lfunc_end17:
	.size	_ZN7rocprim17ROCPRIM_400000_NS6detail17trampoline_kernelINS0_14default_configENS1_25transform_config_selectorIjLb1EEEZNS1_14transform_implILb1ES3_S5_PjS7_NS0_8identityIjEEEE10hipError_tT2_T3_mT4_P12ihipStream_tbEUlT_E_NS1_11comp_targetILNS1_3genE9ELNS1_11target_archE1100ELNS1_3gpuE3ELNS1_3repE0EEENS1_30default_config_static_selectorELNS0_4arch9wavefront6targetE0EEEvT1_, .Lfunc_end17-_ZN7rocprim17ROCPRIM_400000_NS6detail17trampoline_kernelINS0_14default_configENS1_25transform_config_selectorIjLb1EEEZNS1_14transform_implILb1ES3_S5_PjS7_NS0_8identityIjEEEE10hipError_tT2_T3_mT4_P12ihipStream_tbEUlT_E_NS1_11comp_targetILNS1_3genE9ELNS1_11target_archE1100ELNS1_3gpuE3ELNS1_3repE0EEENS1_30default_config_static_selectorELNS0_4arch9wavefront6targetE0EEEvT1_
                                        ; -- End function
	.set _ZN7rocprim17ROCPRIM_400000_NS6detail17trampoline_kernelINS0_14default_configENS1_25transform_config_selectorIjLb1EEEZNS1_14transform_implILb1ES3_S5_PjS7_NS0_8identityIjEEEE10hipError_tT2_T3_mT4_P12ihipStream_tbEUlT_E_NS1_11comp_targetILNS1_3genE9ELNS1_11target_archE1100ELNS1_3gpuE3ELNS1_3repE0EEENS1_30default_config_static_selectorELNS0_4arch9wavefront6targetE0EEEvT1_.num_vgpr, 0
	.set _ZN7rocprim17ROCPRIM_400000_NS6detail17trampoline_kernelINS0_14default_configENS1_25transform_config_selectorIjLb1EEEZNS1_14transform_implILb1ES3_S5_PjS7_NS0_8identityIjEEEE10hipError_tT2_T3_mT4_P12ihipStream_tbEUlT_E_NS1_11comp_targetILNS1_3genE9ELNS1_11target_archE1100ELNS1_3gpuE3ELNS1_3repE0EEENS1_30default_config_static_selectorELNS0_4arch9wavefront6targetE0EEEvT1_.num_agpr, 0
	.set _ZN7rocprim17ROCPRIM_400000_NS6detail17trampoline_kernelINS0_14default_configENS1_25transform_config_selectorIjLb1EEEZNS1_14transform_implILb1ES3_S5_PjS7_NS0_8identityIjEEEE10hipError_tT2_T3_mT4_P12ihipStream_tbEUlT_E_NS1_11comp_targetILNS1_3genE9ELNS1_11target_archE1100ELNS1_3gpuE3ELNS1_3repE0EEENS1_30default_config_static_selectorELNS0_4arch9wavefront6targetE0EEEvT1_.numbered_sgpr, 0
	.set _ZN7rocprim17ROCPRIM_400000_NS6detail17trampoline_kernelINS0_14default_configENS1_25transform_config_selectorIjLb1EEEZNS1_14transform_implILb1ES3_S5_PjS7_NS0_8identityIjEEEE10hipError_tT2_T3_mT4_P12ihipStream_tbEUlT_E_NS1_11comp_targetILNS1_3genE9ELNS1_11target_archE1100ELNS1_3gpuE3ELNS1_3repE0EEENS1_30default_config_static_selectorELNS0_4arch9wavefront6targetE0EEEvT1_.num_named_barrier, 0
	.set _ZN7rocprim17ROCPRIM_400000_NS6detail17trampoline_kernelINS0_14default_configENS1_25transform_config_selectorIjLb1EEEZNS1_14transform_implILb1ES3_S5_PjS7_NS0_8identityIjEEEE10hipError_tT2_T3_mT4_P12ihipStream_tbEUlT_E_NS1_11comp_targetILNS1_3genE9ELNS1_11target_archE1100ELNS1_3gpuE3ELNS1_3repE0EEENS1_30default_config_static_selectorELNS0_4arch9wavefront6targetE0EEEvT1_.private_seg_size, 0
	.set _ZN7rocprim17ROCPRIM_400000_NS6detail17trampoline_kernelINS0_14default_configENS1_25transform_config_selectorIjLb1EEEZNS1_14transform_implILb1ES3_S5_PjS7_NS0_8identityIjEEEE10hipError_tT2_T3_mT4_P12ihipStream_tbEUlT_E_NS1_11comp_targetILNS1_3genE9ELNS1_11target_archE1100ELNS1_3gpuE3ELNS1_3repE0EEENS1_30default_config_static_selectorELNS0_4arch9wavefront6targetE0EEEvT1_.uses_vcc, 0
	.set _ZN7rocprim17ROCPRIM_400000_NS6detail17trampoline_kernelINS0_14default_configENS1_25transform_config_selectorIjLb1EEEZNS1_14transform_implILb1ES3_S5_PjS7_NS0_8identityIjEEEE10hipError_tT2_T3_mT4_P12ihipStream_tbEUlT_E_NS1_11comp_targetILNS1_3genE9ELNS1_11target_archE1100ELNS1_3gpuE3ELNS1_3repE0EEENS1_30default_config_static_selectorELNS0_4arch9wavefront6targetE0EEEvT1_.uses_flat_scratch, 0
	.set _ZN7rocprim17ROCPRIM_400000_NS6detail17trampoline_kernelINS0_14default_configENS1_25transform_config_selectorIjLb1EEEZNS1_14transform_implILb1ES3_S5_PjS7_NS0_8identityIjEEEE10hipError_tT2_T3_mT4_P12ihipStream_tbEUlT_E_NS1_11comp_targetILNS1_3genE9ELNS1_11target_archE1100ELNS1_3gpuE3ELNS1_3repE0EEENS1_30default_config_static_selectorELNS0_4arch9wavefront6targetE0EEEvT1_.has_dyn_sized_stack, 0
	.set _ZN7rocprim17ROCPRIM_400000_NS6detail17trampoline_kernelINS0_14default_configENS1_25transform_config_selectorIjLb1EEEZNS1_14transform_implILb1ES3_S5_PjS7_NS0_8identityIjEEEE10hipError_tT2_T3_mT4_P12ihipStream_tbEUlT_E_NS1_11comp_targetILNS1_3genE9ELNS1_11target_archE1100ELNS1_3gpuE3ELNS1_3repE0EEENS1_30default_config_static_selectorELNS0_4arch9wavefront6targetE0EEEvT1_.has_recursion, 0
	.set _ZN7rocprim17ROCPRIM_400000_NS6detail17trampoline_kernelINS0_14default_configENS1_25transform_config_selectorIjLb1EEEZNS1_14transform_implILb1ES3_S5_PjS7_NS0_8identityIjEEEE10hipError_tT2_T3_mT4_P12ihipStream_tbEUlT_E_NS1_11comp_targetILNS1_3genE9ELNS1_11target_archE1100ELNS1_3gpuE3ELNS1_3repE0EEENS1_30default_config_static_selectorELNS0_4arch9wavefront6targetE0EEEvT1_.has_indirect_call, 0
	.section	.AMDGPU.csdata,"",@progbits
; Kernel info:
; codeLenInByte = 0
; TotalNumSgprs: 0
; NumVgprs: 0
; ScratchSize: 0
; MemoryBound: 0
; FloatMode: 240
; IeeeMode: 1
; LDSByteSize: 0 bytes/workgroup (compile time only)
; SGPRBlocks: 0
; VGPRBlocks: 0
; NumSGPRsForWavesPerEU: 1
; NumVGPRsForWavesPerEU: 1
; NamedBarCnt: 0
; Occupancy: 16
; WaveLimiterHint : 0
; COMPUTE_PGM_RSRC2:SCRATCH_EN: 0
; COMPUTE_PGM_RSRC2:USER_SGPR: 2
; COMPUTE_PGM_RSRC2:TRAP_HANDLER: 0
; COMPUTE_PGM_RSRC2:TGID_X_EN: 1
; COMPUTE_PGM_RSRC2:TGID_Y_EN: 0
; COMPUTE_PGM_RSRC2:TGID_Z_EN: 0
; COMPUTE_PGM_RSRC2:TIDIG_COMP_CNT: 0
	.section	.text._ZN7rocprim17ROCPRIM_400000_NS6detail17trampoline_kernelINS0_14default_configENS1_25transform_config_selectorIjLb1EEEZNS1_14transform_implILb1ES3_S5_PjS7_NS0_8identityIjEEEE10hipError_tT2_T3_mT4_P12ihipStream_tbEUlT_E_NS1_11comp_targetILNS1_3genE8ELNS1_11target_archE1030ELNS1_3gpuE2ELNS1_3repE0EEENS1_30default_config_static_selectorELNS0_4arch9wavefront6targetE0EEEvT1_,"axG",@progbits,_ZN7rocprim17ROCPRIM_400000_NS6detail17trampoline_kernelINS0_14default_configENS1_25transform_config_selectorIjLb1EEEZNS1_14transform_implILb1ES3_S5_PjS7_NS0_8identityIjEEEE10hipError_tT2_T3_mT4_P12ihipStream_tbEUlT_E_NS1_11comp_targetILNS1_3genE8ELNS1_11target_archE1030ELNS1_3gpuE2ELNS1_3repE0EEENS1_30default_config_static_selectorELNS0_4arch9wavefront6targetE0EEEvT1_,comdat
	.protected	_ZN7rocprim17ROCPRIM_400000_NS6detail17trampoline_kernelINS0_14default_configENS1_25transform_config_selectorIjLb1EEEZNS1_14transform_implILb1ES3_S5_PjS7_NS0_8identityIjEEEE10hipError_tT2_T3_mT4_P12ihipStream_tbEUlT_E_NS1_11comp_targetILNS1_3genE8ELNS1_11target_archE1030ELNS1_3gpuE2ELNS1_3repE0EEENS1_30default_config_static_selectorELNS0_4arch9wavefront6targetE0EEEvT1_ ; -- Begin function _ZN7rocprim17ROCPRIM_400000_NS6detail17trampoline_kernelINS0_14default_configENS1_25transform_config_selectorIjLb1EEEZNS1_14transform_implILb1ES3_S5_PjS7_NS0_8identityIjEEEE10hipError_tT2_T3_mT4_P12ihipStream_tbEUlT_E_NS1_11comp_targetILNS1_3genE8ELNS1_11target_archE1030ELNS1_3gpuE2ELNS1_3repE0EEENS1_30default_config_static_selectorELNS0_4arch9wavefront6targetE0EEEvT1_
	.globl	_ZN7rocprim17ROCPRIM_400000_NS6detail17trampoline_kernelINS0_14default_configENS1_25transform_config_selectorIjLb1EEEZNS1_14transform_implILb1ES3_S5_PjS7_NS0_8identityIjEEEE10hipError_tT2_T3_mT4_P12ihipStream_tbEUlT_E_NS1_11comp_targetILNS1_3genE8ELNS1_11target_archE1030ELNS1_3gpuE2ELNS1_3repE0EEENS1_30default_config_static_selectorELNS0_4arch9wavefront6targetE0EEEvT1_
	.p2align	8
	.type	_ZN7rocprim17ROCPRIM_400000_NS6detail17trampoline_kernelINS0_14default_configENS1_25transform_config_selectorIjLb1EEEZNS1_14transform_implILb1ES3_S5_PjS7_NS0_8identityIjEEEE10hipError_tT2_T3_mT4_P12ihipStream_tbEUlT_E_NS1_11comp_targetILNS1_3genE8ELNS1_11target_archE1030ELNS1_3gpuE2ELNS1_3repE0EEENS1_30default_config_static_selectorELNS0_4arch9wavefront6targetE0EEEvT1_,@function
_ZN7rocprim17ROCPRIM_400000_NS6detail17trampoline_kernelINS0_14default_configENS1_25transform_config_selectorIjLb1EEEZNS1_14transform_implILb1ES3_S5_PjS7_NS0_8identityIjEEEE10hipError_tT2_T3_mT4_P12ihipStream_tbEUlT_E_NS1_11comp_targetILNS1_3genE8ELNS1_11target_archE1030ELNS1_3gpuE2ELNS1_3repE0EEENS1_30default_config_static_selectorELNS0_4arch9wavefront6targetE0EEEvT1_: ; @_ZN7rocprim17ROCPRIM_400000_NS6detail17trampoline_kernelINS0_14default_configENS1_25transform_config_selectorIjLb1EEEZNS1_14transform_implILb1ES3_S5_PjS7_NS0_8identityIjEEEE10hipError_tT2_T3_mT4_P12ihipStream_tbEUlT_E_NS1_11comp_targetILNS1_3genE8ELNS1_11target_archE1030ELNS1_3gpuE2ELNS1_3repE0EEENS1_30default_config_static_selectorELNS0_4arch9wavefront6targetE0EEEvT1_
; %bb.0:
	.section	.rodata,"a",@progbits
	.p2align	6, 0x0
	.amdhsa_kernel _ZN7rocprim17ROCPRIM_400000_NS6detail17trampoline_kernelINS0_14default_configENS1_25transform_config_selectorIjLb1EEEZNS1_14transform_implILb1ES3_S5_PjS7_NS0_8identityIjEEEE10hipError_tT2_T3_mT4_P12ihipStream_tbEUlT_E_NS1_11comp_targetILNS1_3genE8ELNS1_11target_archE1030ELNS1_3gpuE2ELNS1_3repE0EEENS1_30default_config_static_selectorELNS0_4arch9wavefront6targetE0EEEvT1_
		.amdhsa_group_segment_fixed_size 0
		.amdhsa_private_segment_fixed_size 0
		.amdhsa_kernarg_size 40
		.amdhsa_user_sgpr_count 2
		.amdhsa_user_sgpr_dispatch_ptr 0
		.amdhsa_user_sgpr_queue_ptr 0
		.amdhsa_user_sgpr_kernarg_segment_ptr 1
		.amdhsa_user_sgpr_dispatch_id 0
		.amdhsa_user_sgpr_kernarg_preload_length 0
		.amdhsa_user_sgpr_kernarg_preload_offset 0
		.amdhsa_user_sgpr_private_segment_size 0
		.amdhsa_wavefront_size32 1
		.amdhsa_uses_dynamic_stack 0
		.amdhsa_enable_private_segment 0
		.amdhsa_system_sgpr_workgroup_id_x 1
		.amdhsa_system_sgpr_workgroup_id_y 0
		.amdhsa_system_sgpr_workgroup_id_z 0
		.amdhsa_system_sgpr_workgroup_info 0
		.amdhsa_system_vgpr_workitem_id 0
		.amdhsa_next_free_vgpr 1
		.amdhsa_next_free_sgpr 1
		.amdhsa_named_barrier_count 0
		.amdhsa_reserve_vcc 0
		.amdhsa_float_round_mode_32 0
		.amdhsa_float_round_mode_16_64 0
		.amdhsa_float_denorm_mode_32 3
		.amdhsa_float_denorm_mode_16_64 3
		.amdhsa_fp16_overflow 0
		.amdhsa_memory_ordered 1
		.amdhsa_forward_progress 1
		.amdhsa_inst_pref_size 0
		.amdhsa_round_robin_scheduling 0
		.amdhsa_exception_fp_ieee_invalid_op 0
		.amdhsa_exception_fp_denorm_src 0
		.amdhsa_exception_fp_ieee_div_zero 0
		.amdhsa_exception_fp_ieee_overflow 0
		.amdhsa_exception_fp_ieee_underflow 0
		.amdhsa_exception_fp_ieee_inexact 0
		.amdhsa_exception_int_div_zero 0
	.end_amdhsa_kernel
	.section	.text._ZN7rocprim17ROCPRIM_400000_NS6detail17trampoline_kernelINS0_14default_configENS1_25transform_config_selectorIjLb1EEEZNS1_14transform_implILb1ES3_S5_PjS7_NS0_8identityIjEEEE10hipError_tT2_T3_mT4_P12ihipStream_tbEUlT_E_NS1_11comp_targetILNS1_3genE8ELNS1_11target_archE1030ELNS1_3gpuE2ELNS1_3repE0EEENS1_30default_config_static_selectorELNS0_4arch9wavefront6targetE0EEEvT1_,"axG",@progbits,_ZN7rocprim17ROCPRIM_400000_NS6detail17trampoline_kernelINS0_14default_configENS1_25transform_config_selectorIjLb1EEEZNS1_14transform_implILb1ES3_S5_PjS7_NS0_8identityIjEEEE10hipError_tT2_T3_mT4_P12ihipStream_tbEUlT_E_NS1_11comp_targetILNS1_3genE8ELNS1_11target_archE1030ELNS1_3gpuE2ELNS1_3repE0EEENS1_30default_config_static_selectorELNS0_4arch9wavefront6targetE0EEEvT1_,comdat
.Lfunc_end18:
	.size	_ZN7rocprim17ROCPRIM_400000_NS6detail17trampoline_kernelINS0_14default_configENS1_25transform_config_selectorIjLb1EEEZNS1_14transform_implILb1ES3_S5_PjS7_NS0_8identityIjEEEE10hipError_tT2_T3_mT4_P12ihipStream_tbEUlT_E_NS1_11comp_targetILNS1_3genE8ELNS1_11target_archE1030ELNS1_3gpuE2ELNS1_3repE0EEENS1_30default_config_static_selectorELNS0_4arch9wavefront6targetE0EEEvT1_, .Lfunc_end18-_ZN7rocprim17ROCPRIM_400000_NS6detail17trampoline_kernelINS0_14default_configENS1_25transform_config_selectorIjLb1EEEZNS1_14transform_implILb1ES3_S5_PjS7_NS0_8identityIjEEEE10hipError_tT2_T3_mT4_P12ihipStream_tbEUlT_E_NS1_11comp_targetILNS1_3genE8ELNS1_11target_archE1030ELNS1_3gpuE2ELNS1_3repE0EEENS1_30default_config_static_selectorELNS0_4arch9wavefront6targetE0EEEvT1_
                                        ; -- End function
	.set _ZN7rocprim17ROCPRIM_400000_NS6detail17trampoline_kernelINS0_14default_configENS1_25transform_config_selectorIjLb1EEEZNS1_14transform_implILb1ES3_S5_PjS7_NS0_8identityIjEEEE10hipError_tT2_T3_mT4_P12ihipStream_tbEUlT_E_NS1_11comp_targetILNS1_3genE8ELNS1_11target_archE1030ELNS1_3gpuE2ELNS1_3repE0EEENS1_30default_config_static_selectorELNS0_4arch9wavefront6targetE0EEEvT1_.num_vgpr, 0
	.set _ZN7rocprim17ROCPRIM_400000_NS6detail17trampoline_kernelINS0_14default_configENS1_25transform_config_selectorIjLb1EEEZNS1_14transform_implILb1ES3_S5_PjS7_NS0_8identityIjEEEE10hipError_tT2_T3_mT4_P12ihipStream_tbEUlT_E_NS1_11comp_targetILNS1_3genE8ELNS1_11target_archE1030ELNS1_3gpuE2ELNS1_3repE0EEENS1_30default_config_static_selectorELNS0_4arch9wavefront6targetE0EEEvT1_.num_agpr, 0
	.set _ZN7rocprim17ROCPRIM_400000_NS6detail17trampoline_kernelINS0_14default_configENS1_25transform_config_selectorIjLb1EEEZNS1_14transform_implILb1ES3_S5_PjS7_NS0_8identityIjEEEE10hipError_tT2_T3_mT4_P12ihipStream_tbEUlT_E_NS1_11comp_targetILNS1_3genE8ELNS1_11target_archE1030ELNS1_3gpuE2ELNS1_3repE0EEENS1_30default_config_static_selectorELNS0_4arch9wavefront6targetE0EEEvT1_.numbered_sgpr, 0
	.set _ZN7rocprim17ROCPRIM_400000_NS6detail17trampoline_kernelINS0_14default_configENS1_25transform_config_selectorIjLb1EEEZNS1_14transform_implILb1ES3_S5_PjS7_NS0_8identityIjEEEE10hipError_tT2_T3_mT4_P12ihipStream_tbEUlT_E_NS1_11comp_targetILNS1_3genE8ELNS1_11target_archE1030ELNS1_3gpuE2ELNS1_3repE0EEENS1_30default_config_static_selectorELNS0_4arch9wavefront6targetE0EEEvT1_.num_named_barrier, 0
	.set _ZN7rocprim17ROCPRIM_400000_NS6detail17trampoline_kernelINS0_14default_configENS1_25transform_config_selectorIjLb1EEEZNS1_14transform_implILb1ES3_S5_PjS7_NS0_8identityIjEEEE10hipError_tT2_T3_mT4_P12ihipStream_tbEUlT_E_NS1_11comp_targetILNS1_3genE8ELNS1_11target_archE1030ELNS1_3gpuE2ELNS1_3repE0EEENS1_30default_config_static_selectorELNS0_4arch9wavefront6targetE0EEEvT1_.private_seg_size, 0
	.set _ZN7rocprim17ROCPRIM_400000_NS6detail17trampoline_kernelINS0_14default_configENS1_25transform_config_selectorIjLb1EEEZNS1_14transform_implILb1ES3_S5_PjS7_NS0_8identityIjEEEE10hipError_tT2_T3_mT4_P12ihipStream_tbEUlT_E_NS1_11comp_targetILNS1_3genE8ELNS1_11target_archE1030ELNS1_3gpuE2ELNS1_3repE0EEENS1_30default_config_static_selectorELNS0_4arch9wavefront6targetE0EEEvT1_.uses_vcc, 0
	.set _ZN7rocprim17ROCPRIM_400000_NS6detail17trampoline_kernelINS0_14default_configENS1_25transform_config_selectorIjLb1EEEZNS1_14transform_implILb1ES3_S5_PjS7_NS0_8identityIjEEEE10hipError_tT2_T3_mT4_P12ihipStream_tbEUlT_E_NS1_11comp_targetILNS1_3genE8ELNS1_11target_archE1030ELNS1_3gpuE2ELNS1_3repE0EEENS1_30default_config_static_selectorELNS0_4arch9wavefront6targetE0EEEvT1_.uses_flat_scratch, 0
	.set _ZN7rocprim17ROCPRIM_400000_NS6detail17trampoline_kernelINS0_14default_configENS1_25transform_config_selectorIjLb1EEEZNS1_14transform_implILb1ES3_S5_PjS7_NS0_8identityIjEEEE10hipError_tT2_T3_mT4_P12ihipStream_tbEUlT_E_NS1_11comp_targetILNS1_3genE8ELNS1_11target_archE1030ELNS1_3gpuE2ELNS1_3repE0EEENS1_30default_config_static_selectorELNS0_4arch9wavefront6targetE0EEEvT1_.has_dyn_sized_stack, 0
	.set _ZN7rocprim17ROCPRIM_400000_NS6detail17trampoline_kernelINS0_14default_configENS1_25transform_config_selectorIjLb1EEEZNS1_14transform_implILb1ES3_S5_PjS7_NS0_8identityIjEEEE10hipError_tT2_T3_mT4_P12ihipStream_tbEUlT_E_NS1_11comp_targetILNS1_3genE8ELNS1_11target_archE1030ELNS1_3gpuE2ELNS1_3repE0EEENS1_30default_config_static_selectorELNS0_4arch9wavefront6targetE0EEEvT1_.has_recursion, 0
	.set _ZN7rocprim17ROCPRIM_400000_NS6detail17trampoline_kernelINS0_14default_configENS1_25transform_config_selectorIjLb1EEEZNS1_14transform_implILb1ES3_S5_PjS7_NS0_8identityIjEEEE10hipError_tT2_T3_mT4_P12ihipStream_tbEUlT_E_NS1_11comp_targetILNS1_3genE8ELNS1_11target_archE1030ELNS1_3gpuE2ELNS1_3repE0EEENS1_30default_config_static_selectorELNS0_4arch9wavefront6targetE0EEEvT1_.has_indirect_call, 0
	.section	.AMDGPU.csdata,"",@progbits
; Kernel info:
; codeLenInByte = 0
; TotalNumSgprs: 0
; NumVgprs: 0
; ScratchSize: 0
; MemoryBound: 0
; FloatMode: 240
; IeeeMode: 1
; LDSByteSize: 0 bytes/workgroup (compile time only)
; SGPRBlocks: 0
; VGPRBlocks: 0
; NumSGPRsForWavesPerEU: 1
; NumVGPRsForWavesPerEU: 1
; NamedBarCnt: 0
; Occupancy: 16
; WaveLimiterHint : 0
; COMPUTE_PGM_RSRC2:SCRATCH_EN: 0
; COMPUTE_PGM_RSRC2:USER_SGPR: 2
; COMPUTE_PGM_RSRC2:TRAP_HANDLER: 0
; COMPUTE_PGM_RSRC2:TGID_X_EN: 1
; COMPUTE_PGM_RSRC2:TGID_Y_EN: 0
; COMPUTE_PGM_RSRC2:TGID_Z_EN: 0
; COMPUTE_PGM_RSRC2:TIDIG_COMP_CNT: 0
	.section	.text._ZN7rocprim17ROCPRIM_400000_NS6detail17trampoline_kernelINS0_14default_configENS1_20scan_config_selectorIjEEZZNS1_9scan_implILNS1_25lookback_scan_determinismE0ELb1ELb1ES3_PjS8_jN6hipcub16HIPCUB_304000_NS3SumEjEEDaPvRmT3_T4_T5_mT6_P12ihipStream_tbENKUlT_T0_E_clISt17integral_constantIbLb0EESP_EEDaSK_SL_EUlSK_E0_NS1_11comp_targetILNS1_3genE0ELNS1_11target_archE4294967295ELNS1_3gpuE0ELNS1_3repE0EEENS1_30default_config_static_selectorELNS0_4arch9wavefront6targetE0EEEvT1_,"axG",@progbits,_ZN7rocprim17ROCPRIM_400000_NS6detail17trampoline_kernelINS0_14default_configENS1_20scan_config_selectorIjEEZZNS1_9scan_implILNS1_25lookback_scan_determinismE0ELb1ELb1ES3_PjS8_jN6hipcub16HIPCUB_304000_NS3SumEjEEDaPvRmT3_T4_T5_mT6_P12ihipStream_tbENKUlT_T0_E_clISt17integral_constantIbLb0EESP_EEDaSK_SL_EUlSK_E0_NS1_11comp_targetILNS1_3genE0ELNS1_11target_archE4294967295ELNS1_3gpuE0ELNS1_3repE0EEENS1_30default_config_static_selectorELNS0_4arch9wavefront6targetE0EEEvT1_,comdat
	.protected	_ZN7rocprim17ROCPRIM_400000_NS6detail17trampoline_kernelINS0_14default_configENS1_20scan_config_selectorIjEEZZNS1_9scan_implILNS1_25lookback_scan_determinismE0ELb1ELb1ES3_PjS8_jN6hipcub16HIPCUB_304000_NS3SumEjEEDaPvRmT3_T4_T5_mT6_P12ihipStream_tbENKUlT_T0_E_clISt17integral_constantIbLb0EESP_EEDaSK_SL_EUlSK_E0_NS1_11comp_targetILNS1_3genE0ELNS1_11target_archE4294967295ELNS1_3gpuE0ELNS1_3repE0EEENS1_30default_config_static_selectorELNS0_4arch9wavefront6targetE0EEEvT1_ ; -- Begin function _ZN7rocprim17ROCPRIM_400000_NS6detail17trampoline_kernelINS0_14default_configENS1_20scan_config_selectorIjEEZZNS1_9scan_implILNS1_25lookback_scan_determinismE0ELb1ELb1ES3_PjS8_jN6hipcub16HIPCUB_304000_NS3SumEjEEDaPvRmT3_T4_T5_mT6_P12ihipStream_tbENKUlT_T0_E_clISt17integral_constantIbLb0EESP_EEDaSK_SL_EUlSK_E0_NS1_11comp_targetILNS1_3genE0ELNS1_11target_archE4294967295ELNS1_3gpuE0ELNS1_3repE0EEENS1_30default_config_static_selectorELNS0_4arch9wavefront6targetE0EEEvT1_
	.globl	_ZN7rocprim17ROCPRIM_400000_NS6detail17trampoline_kernelINS0_14default_configENS1_20scan_config_selectorIjEEZZNS1_9scan_implILNS1_25lookback_scan_determinismE0ELb1ELb1ES3_PjS8_jN6hipcub16HIPCUB_304000_NS3SumEjEEDaPvRmT3_T4_T5_mT6_P12ihipStream_tbENKUlT_T0_E_clISt17integral_constantIbLb0EESP_EEDaSK_SL_EUlSK_E0_NS1_11comp_targetILNS1_3genE0ELNS1_11target_archE4294967295ELNS1_3gpuE0ELNS1_3repE0EEENS1_30default_config_static_selectorELNS0_4arch9wavefront6targetE0EEEvT1_
	.p2align	8
	.type	_ZN7rocprim17ROCPRIM_400000_NS6detail17trampoline_kernelINS0_14default_configENS1_20scan_config_selectorIjEEZZNS1_9scan_implILNS1_25lookback_scan_determinismE0ELb1ELb1ES3_PjS8_jN6hipcub16HIPCUB_304000_NS3SumEjEEDaPvRmT3_T4_T5_mT6_P12ihipStream_tbENKUlT_T0_E_clISt17integral_constantIbLb0EESP_EEDaSK_SL_EUlSK_E0_NS1_11comp_targetILNS1_3genE0ELNS1_11target_archE4294967295ELNS1_3gpuE0ELNS1_3repE0EEENS1_30default_config_static_selectorELNS0_4arch9wavefront6targetE0EEEvT1_,@function
_ZN7rocprim17ROCPRIM_400000_NS6detail17trampoline_kernelINS0_14default_configENS1_20scan_config_selectorIjEEZZNS1_9scan_implILNS1_25lookback_scan_determinismE0ELb1ELb1ES3_PjS8_jN6hipcub16HIPCUB_304000_NS3SumEjEEDaPvRmT3_T4_T5_mT6_P12ihipStream_tbENKUlT_T0_E_clISt17integral_constantIbLb0EESP_EEDaSK_SL_EUlSK_E0_NS1_11comp_targetILNS1_3genE0ELNS1_11target_archE4294967295ELNS1_3gpuE0ELNS1_3repE0EEENS1_30default_config_static_selectorELNS0_4arch9wavefront6targetE0EEEvT1_: ; @_ZN7rocprim17ROCPRIM_400000_NS6detail17trampoline_kernelINS0_14default_configENS1_20scan_config_selectorIjEEZZNS1_9scan_implILNS1_25lookback_scan_determinismE0ELb1ELb1ES3_PjS8_jN6hipcub16HIPCUB_304000_NS3SumEjEEDaPvRmT3_T4_T5_mT6_P12ihipStream_tbENKUlT_T0_E_clISt17integral_constantIbLb0EESP_EEDaSK_SL_EUlSK_E0_NS1_11comp_targetILNS1_3genE0ELNS1_11target_archE4294967295ELNS1_3gpuE0ELNS1_3repE0EEENS1_30default_config_static_selectorELNS0_4arch9wavefront6targetE0EEEvT1_
; %bb.0:
	s_load_b128 s[16:19], s[0:1], 0x0
	s_wait_kmcnt 0x0
	v_cmp_gt_u32_e32 vcc_lo, s18, v0
	s_load_b32 s19, s[16:17], 0x0
	s_wait_kmcnt 0x0
	v_mov_b32_e32 v1, s19
	s_and_saveexec_b32 s2, vcc_lo
	s_cbranch_execz .LBB19_2
; %bb.1:
	global_load_b32 v1, v0, s[16:17] scale_offset
.LBB19_2:
	s_wait_xcnt 0x0
	s_or_b32 exec_lo, exec_lo, s2
	v_or_b32_e32 v2, 0x100, v0
	s_delay_alu instid0(VALU_DEP_1)
	v_cmp_gt_u32_e64 s2, s18, v2
	v_mov_b32_e32 v2, s19
	s_and_saveexec_b32 s3, s2
	s_cbranch_execz .LBB19_4
; %bb.3:
	global_load_b32 v2, v0, s[16:17] offset:1024 scale_offset
.LBB19_4:
	s_wait_xcnt 0x0
	s_or_b32 exec_lo, exec_lo, s3
	v_or_b32_e32 v3, 0x200, v0
	s_delay_alu instid0(VALU_DEP_1)
	v_cmp_gt_u32_e64 s3, s18, v3
	v_mov_b32_e32 v3, s19
	s_and_saveexec_b32 s4, s3
	s_cbranch_execz .LBB19_6
; %bb.5:
	global_load_b32 v3, v0, s[16:17] offset:2048 scale_offset
.LBB19_6:
	;; [unrolled: 11-line block ×12, first 2 shown]
	s_wait_xcnt 0x0
	s_or_b32 exec_lo, exec_lo, s14
	v_or_b32_e32 v14, 0xd00, v0
	s_delay_alu instid0(VALU_DEP_1) | instskip(SKIP_2) | instid1(SALU_CYCLE_1)
	v_cmp_gt_u32_e64 s14, s18, v14
	v_cmp_le_u32_e64 s15, s18, v14
	s_and_saveexec_b32 s18, s15
	s_xor_b32 s15, exec_lo, s18
	s_delay_alu instid0(SALU_CYCLE_1)
	s_or_saveexec_b32 s15, s15
	v_mov_b32_e32 v14, s19
	s_xor_b32 exec_lo, exec_lo, s15
	s_cbranch_execz .LBB19_28
; %bb.27:
	global_load_b32 v14, v0, s[16:17] offset:13312 scale_offset
.LBB19_28:
	s_wait_xcnt 0x0
	s_or_b32 exec_lo, exec_lo, s15
	v_lshlrev_b32_e32 v16, 2, v0
	s_load_b32 s18, s[0:1], 0x10
	v_or_b32_e32 v19, 31, v0
	s_mov_b32 s16, exec_lo
	s_wait_loadcnt 0x0
	ds_store_2addr_stride64_b32 v16, v1, v2 offset1:4
	ds_store_2addr_stride64_b32 v16, v3, v4 offset0:8 offset1:12
	ds_store_2addr_stride64_b32 v16, v5, v6 offset0:16 offset1:20
	ds_store_2addr_stride64_b32 v16, v7, v8 offset0:24 offset1:28
	ds_store_2addr_stride64_b32 v16, v9, v10 offset0:32 offset1:36
	ds_store_2addr_stride64_b32 v16, v11, v12 offset0:40 offset1:44
	ds_store_2addr_stride64_b32 v16, v13, v14 offset0:48 offset1:52
	v_mad_u32_u24 v1, v0, 52, v16
	s_wait_dscnt 0x0
	s_barrier_signal -1
	s_barrier_wait -1
	ds_load_2addr_b64 v[10:13], v1 offset1:1
	ds_load_2addr_b64 v[6:9], v1 offset0:2 offset1:3
	ds_load_2addr_b64 v[2:5], v1 offset0:4 offset1:5
	s_wait_dscnt 0x2
	v_add_nc_u32_e32 v14, v11, v10
	s_delay_alu instid0(VALU_DEP_1)
	v_add3_u32 v17, v14, v12, v13
	ds_load_b64 v[14:15], v1 offset:48
	s_wait_dscnt 0x0
	s_barrier_signal -1
	s_barrier_wait -1
	v_add3_u32 v1, v17, v6, v7
	s_delay_alu instid0(VALU_DEP_1) | instskip(NEXT) | instid1(VALU_DEP_1)
	v_add3_u32 v1, v1, v8, v9
	v_add3_u32 v1, v1, v2, v3
	s_delay_alu instid0(VALU_DEP_1) | instskip(SKIP_1) | instid1(VALU_DEP_2)
	v_add3_u32 v17, v1, v4, v5
	v_mbcnt_lo_u32_b32 v1, -1, 0
	v_add3_u32 v15, v17, v14, v15
	s_delay_alu instid0(VALU_DEP_1) | instskip(NEXT) | instid1(VALU_DEP_3)
	v_mov_b32_dpp v18, v15 row_shr:1 row_mask:0xf bank_mask:0xf
	v_and_b32_e32 v17, 15, v1
	s_delay_alu instid0(VALU_DEP_1) | instskip(NEXT) | instid1(VALU_DEP_1)
	v_cmp_ne_u32_e64 s15, 0, v17
	v_cndmask_b32_e64 v18, 0, v18, s15
	v_cmp_lt_u32_e64 s15, 1, v17
	s_delay_alu instid0(VALU_DEP_2) | instskip(NEXT) | instid1(VALU_DEP_1)
	v_add_nc_u32_e32 v15, v18, v15
	v_mov_b32_dpp v18, v15 row_shr:2 row_mask:0xf bank_mask:0xf
	s_delay_alu instid0(VALU_DEP_1) | instskip(SKIP_1) | instid1(VALU_DEP_2)
	v_cndmask_b32_e64 v18, 0, v18, s15
	v_cmp_lt_u32_e64 s15, 3, v17
	v_add_nc_u32_e32 v15, v15, v18
	s_delay_alu instid0(VALU_DEP_1) | instskip(NEXT) | instid1(VALU_DEP_1)
	v_mov_b32_dpp v18, v15 row_shr:4 row_mask:0xf bank_mask:0xf
	v_cndmask_b32_e64 v18, 0, v18, s15
	v_cmp_lt_u32_e64 s15, 7, v17
	s_delay_alu instid0(VALU_DEP_2) | instskip(NEXT) | instid1(VALU_DEP_1)
	v_add_nc_u32_e32 v15, v15, v18
	v_mov_b32_dpp v18, v15 row_shr:8 row_mask:0xf bank_mask:0xf
	s_delay_alu instid0(VALU_DEP_1) | instskip(SKIP_1) | instid1(VALU_DEP_2)
	v_cndmask_b32_e64 v17, 0, v18, s15
	v_bfe_i32 v18, v1, 4, 1
	v_add_nc_u32_e32 v15, v15, v17
	ds_swizzle_b32 v17, v15 offset:swizzle(BROADCAST,32,15)
	s_wait_dscnt 0x0
	v_dual_lshrrev_b32 v17, 5, v0 :: v_dual_bitop2_b32 v18, v18, v17 bitop3:0x40
	s_delay_alu instid0(VALU_DEP_1)
	v_add_nc_u32_e32 v15, v15, v18
	v_cmpx_eq_u32_e64 v0, v19
; %bb.29:
	s_delay_alu instid0(VALU_DEP_3)
	v_lshlrev_b32_e32 v18, 2, v17
	ds_store_b32 v18, v15
; %bb.30:
	s_or_b32 exec_lo, exec_lo, s16
	s_delay_alu instid0(SALU_CYCLE_1)
	s_mov_b32 s16, exec_lo
	s_wait_dscnt 0x0
	s_barrier_signal -1
	s_barrier_wait -1
	v_cmpx_gt_u32_e32 8, v0
	s_cbranch_execz .LBB19_32
; %bb.31:
	ds_load_b32 v18, v16
	s_wait_dscnt 0x0
	v_mov_b32_dpp v20, v18 row_shr:1 row_mask:0xf bank_mask:0xf
	v_and_b32_e32 v19, 7, v1
	s_delay_alu instid0(VALU_DEP_1) | instskip(NEXT) | instid1(VALU_DEP_1)
	v_cmp_ne_u32_e64 s15, 0, v19
	v_cndmask_b32_e64 v20, 0, v20, s15
	v_cmp_lt_u32_e64 s15, 1, v19
	s_delay_alu instid0(VALU_DEP_2) | instskip(NEXT) | instid1(VALU_DEP_1)
	v_add_nc_u32_e32 v18, v20, v18
	v_mov_b32_dpp v20, v18 row_shr:2 row_mask:0xf bank_mask:0xf
	s_delay_alu instid0(VALU_DEP_1) | instskip(SKIP_1) | instid1(VALU_DEP_2)
	v_cndmask_b32_e64 v20, 0, v20, s15
	v_cmp_lt_u32_e64 s15, 3, v19
	v_add_nc_u32_e32 v18, v18, v20
	s_delay_alu instid0(VALU_DEP_1) | instskip(NEXT) | instid1(VALU_DEP_1)
	v_mov_b32_dpp v20, v18 row_shr:4 row_mask:0xf bank_mask:0xf
	v_cndmask_b32_e64 v19, 0, v20, s15
	s_delay_alu instid0(VALU_DEP_1)
	v_add_nc_u32_e32 v18, v18, v19
	ds_store_b32 v16, v18
.LBB19_32:
	s_or_b32 exec_lo, exec_lo, s16
	s_load_b64 s[16:17], s[0:1], 0x18
	v_mul_u32_u24_e32 v18, 52, v0
	s_wait_kmcnt 0x0
	v_mov_b32_e32 v19, s18
	s_mov_b32 s1, exec_lo
	s_wait_dscnt 0x0
	s_barrier_signal -1
	s_barrier_wait -1
	v_cmpx_lt_u32_e32 31, v0
	s_cbranch_execz .LBB19_34
; %bb.33:
	v_lshl_add_u32 v17, v17, 2, -4
	ds_load_b32 v17, v17
	s_wait_dscnt 0x0
	v_add_nc_u32_e32 v19, s18, v17
.LBB19_34:
	s_or_b32 exec_lo, exec_lo, s1
	v_sub_co_u32 v17, s0, v1, 1
	s_barrier_signal -1
	s_barrier_wait -1
	s_delay_alu instid0(VALU_DEP_1) | instskip(NEXT) | instid1(VALU_DEP_1)
	v_cmp_gt_i32_e64 s1, 0, v17
	v_dual_add_nc_u32 v15, v19, v15 :: v_dual_cndmask_b32 v1, v17, v1, s1
	s_delay_alu instid0(VALU_DEP_1)
	v_lshlrev_b32_e32 v1, 2, v1
	ds_bpermute_b32 v1, v1, v15
	s_wait_dscnt 0x0
	v_cndmask_b32_e64 v1, v1, v19, s0
	v_cmp_eq_u32_e64 s0, 0, v0
	v_lshlrev_b32_e32 v0, 2, v0
	s_delay_alu instid0(VALU_DEP_2) | instskip(SKIP_1) | instid1(VALU_DEP_2)
	v_cndmask_b32_e64 v20, v1, s18, s0
	v_add_nc_u32_e32 v1, v16, v18
	v_add_nc_u32_e32 v21, v20, v10
	s_delay_alu instid0(VALU_DEP_1) | instskip(NEXT) | instid1(VALU_DEP_1)
	v_add_nc_u32_e32 v10, v21, v11
	v_add_nc_u32_e32 v11, v10, v12
	s_delay_alu instid0(VALU_DEP_1) | instskip(NEXT) | instid1(VALU_DEP_1)
	;; [unrolled: 3-line block ×6, first 2 shown]
	v_add_nc_u32_e32 v4, v3, v5
	v_add_nc_u32_e32 v5, v4, v14
	ds_store_2addr_b64 v1, v[20:21], v[10:11] offset1:1
	ds_store_2addr_b64 v1, v[12:13], v[6:7] offset0:2 offset1:3
	ds_store_2addr_b64 v1, v[8:9], v[2:3] offset0:4 offset1:5
	ds_store_b64 v1, v[4:5] offset:48
	s_wait_dscnt 0x0
	s_barrier_signal -1
	s_barrier_wait -1
	ds_load_2addr_stride64_b32 v[12:13], v16 offset0:4 offset1:8
	ds_load_2addr_stride64_b32 v[10:11], v16 offset0:12 offset1:16
	;; [unrolled: 1-line block ×6, first 2 shown]
	ds_load_b32 v14, v16 offset:13312
	v_mov_b32_e32 v1, 0
	s_delay_alu instid0(VALU_DEP_1)
	v_add_nc_u64_e32 v[0:1], s[16:17], v[0:1]
	s_and_saveexec_b32 s0, vcc_lo
	s_cbranch_execnz .LBB19_49
; %bb.35:
	s_or_b32 exec_lo, exec_lo, s0
	s_and_saveexec_b32 s0, s2
	s_cbranch_execnz .LBB19_50
.LBB19_36:
	s_or_b32 exec_lo, exec_lo, s0
	s_and_saveexec_b32 s0, s3
	s_cbranch_execnz .LBB19_51
.LBB19_37:
	s_or_b32 exec_lo, exec_lo, s0
	s_and_saveexec_b32 s0, s4
	s_cbranch_execnz .LBB19_52
.LBB19_38:
	s_or_b32 exec_lo, exec_lo, s0
	s_and_saveexec_b32 s0, s5
	s_cbranch_execnz .LBB19_53
.LBB19_39:
	s_or_b32 exec_lo, exec_lo, s0
	s_and_saveexec_b32 s0, s6
	s_cbranch_execnz .LBB19_54
.LBB19_40:
	s_or_b32 exec_lo, exec_lo, s0
	s_and_saveexec_b32 s0, s7
	s_cbranch_execnz .LBB19_55
.LBB19_41:
	s_or_b32 exec_lo, exec_lo, s0
	s_and_saveexec_b32 s0, s8
	s_cbranch_execnz .LBB19_56
.LBB19_42:
	s_or_b32 exec_lo, exec_lo, s0
	s_and_saveexec_b32 s0, s9
	s_cbranch_execnz .LBB19_57
.LBB19_43:
	s_or_b32 exec_lo, exec_lo, s0
	s_and_saveexec_b32 s0, s10
	s_cbranch_execnz .LBB19_58
.LBB19_44:
	s_or_b32 exec_lo, exec_lo, s0
	s_and_saveexec_b32 s0, s11
	s_cbranch_execnz .LBB19_59
.LBB19_45:
	s_or_b32 exec_lo, exec_lo, s0
	s_and_saveexec_b32 s0, s12
	s_cbranch_execnz .LBB19_60
.LBB19_46:
	s_or_b32 exec_lo, exec_lo, s0
	s_and_saveexec_b32 s0, s13
	s_cbranch_execnz .LBB19_61
.LBB19_47:
	s_or_b32 exec_lo, exec_lo, s0
	s_and_saveexec_b32 s0, s14
	s_cbranch_execnz .LBB19_62
.LBB19_48:
	s_endpgm
.LBB19_49:
	ds_load_b32 v15, v16
	s_wait_dscnt 0x0
	global_store_b32 v[0:1], v15, off
	s_wait_xcnt 0x0
	s_or_b32 exec_lo, exec_lo, s0
	s_and_saveexec_b32 s0, s2
	s_cbranch_execz .LBB19_36
.LBB19_50:
	s_wait_dscnt 0x6
	global_store_b32 v[0:1], v12, off offset:1024
	s_wait_xcnt 0x0
	s_or_b32 exec_lo, exec_lo, s0
	s_and_saveexec_b32 s0, s3
	s_cbranch_execz .LBB19_37
.LBB19_51:
	s_wait_dscnt 0x6
	global_store_b32 v[0:1], v13, off offset:2048
	s_wait_xcnt 0x0
	s_or_b32 exec_lo, exec_lo, s0
	s_and_saveexec_b32 s0, s4
	s_cbranch_execz .LBB19_38
.LBB19_52:
	s_wait_dscnt 0x5
	global_store_b32 v[0:1], v10, off offset:3072
	s_wait_xcnt 0x0
	s_or_b32 exec_lo, exec_lo, s0
	s_and_saveexec_b32 s0, s5
	s_cbranch_execz .LBB19_39
.LBB19_53:
	s_wait_dscnt 0x5
	global_store_b32 v[0:1], v11, off offset:4096
	s_wait_xcnt 0x0
	s_or_b32 exec_lo, exec_lo, s0
	s_and_saveexec_b32 s0, s6
	s_cbranch_execz .LBB19_40
.LBB19_54:
	s_wait_dscnt 0x4
	global_store_b32 v[0:1], v8, off offset:5120
	s_wait_xcnt 0x0
	s_or_b32 exec_lo, exec_lo, s0
	s_and_saveexec_b32 s0, s7
	s_cbranch_execz .LBB19_41
.LBB19_55:
	s_wait_dscnt 0x4
	global_store_b32 v[0:1], v9, off offset:6144
	s_wait_xcnt 0x0
	s_or_b32 exec_lo, exec_lo, s0
	s_and_saveexec_b32 s0, s8
	s_cbranch_execz .LBB19_42
.LBB19_56:
	s_wait_dscnt 0x3
	global_store_b32 v[0:1], v6, off offset:7168
	s_wait_xcnt 0x0
	s_or_b32 exec_lo, exec_lo, s0
	s_and_saveexec_b32 s0, s9
	s_cbranch_execz .LBB19_43
.LBB19_57:
	s_wait_dscnt 0x3
	global_store_b32 v[0:1], v7, off offset:8192
	s_wait_xcnt 0x0
	s_or_b32 exec_lo, exec_lo, s0
	s_and_saveexec_b32 s0, s10
	s_cbranch_execz .LBB19_44
.LBB19_58:
	s_wait_dscnt 0x2
	global_store_b32 v[0:1], v4, off offset:9216
	s_wait_xcnt 0x0
	s_or_b32 exec_lo, exec_lo, s0
	s_and_saveexec_b32 s0, s11
	s_cbranch_execz .LBB19_45
.LBB19_59:
	s_wait_dscnt 0x2
	global_store_b32 v[0:1], v5, off offset:10240
	s_wait_xcnt 0x0
	s_or_b32 exec_lo, exec_lo, s0
	s_and_saveexec_b32 s0, s12
	s_cbranch_execz .LBB19_46
.LBB19_60:
	s_wait_dscnt 0x1
	global_store_b32 v[0:1], v2, off offset:11264
	s_wait_xcnt 0x0
	s_or_b32 exec_lo, exec_lo, s0
	s_and_saveexec_b32 s0, s13
	s_cbranch_execz .LBB19_47
.LBB19_61:
	s_wait_dscnt 0x1
	global_store_b32 v[0:1], v3, off offset:12288
	s_wait_xcnt 0x0
	s_or_b32 exec_lo, exec_lo, s0
	s_and_saveexec_b32 s0, s14
	s_cbranch_execz .LBB19_48
.LBB19_62:
	s_wait_dscnt 0x0
	global_store_b32 v[0:1], v14, off offset:13312
	s_endpgm
	.section	.rodata,"a",@progbits
	.p2align	6, 0x0
	.amdhsa_kernel _ZN7rocprim17ROCPRIM_400000_NS6detail17trampoline_kernelINS0_14default_configENS1_20scan_config_selectorIjEEZZNS1_9scan_implILNS1_25lookback_scan_determinismE0ELb1ELb1ES3_PjS8_jN6hipcub16HIPCUB_304000_NS3SumEjEEDaPvRmT3_T4_T5_mT6_P12ihipStream_tbENKUlT_T0_E_clISt17integral_constantIbLb0EESP_EEDaSK_SL_EUlSK_E0_NS1_11comp_targetILNS1_3genE0ELNS1_11target_archE4294967295ELNS1_3gpuE0ELNS1_3repE0EEENS1_30default_config_static_selectorELNS0_4arch9wavefront6targetE0EEEvT1_
		.amdhsa_group_segment_fixed_size 14336
		.amdhsa_private_segment_fixed_size 0
		.amdhsa_kernarg_size 32
		.amdhsa_user_sgpr_count 2
		.amdhsa_user_sgpr_dispatch_ptr 0
		.amdhsa_user_sgpr_queue_ptr 0
		.amdhsa_user_sgpr_kernarg_segment_ptr 1
		.amdhsa_user_sgpr_dispatch_id 0
		.amdhsa_user_sgpr_kernarg_preload_length 0
		.amdhsa_user_sgpr_kernarg_preload_offset 0
		.amdhsa_user_sgpr_private_segment_size 0
		.amdhsa_wavefront_size32 1
		.amdhsa_uses_dynamic_stack 0
		.amdhsa_enable_private_segment 0
		.amdhsa_system_sgpr_workgroup_id_x 1
		.amdhsa_system_sgpr_workgroup_id_y 0
		.amdhsa_system_sgpr_workgroup_id_z 0
		.amdhsa_system_sgpr_workgroup_info 0
		.amdhsa_system_vgpr_workitem_id 0
		.amdhsa_next_free_vgpr 22
		.amdhsa_next_free_sgpr 20
		.amdhsa_named_barrier_count 0
		.amdhsa_reserve_vcc 1
		.amdhsa_float_round_mode_32 0
		.amdhsa_float_round_mode_16_64 0
		.amdhsa_float_denorm_mode_32 3
		.amdhsa_float_denorm_mode_16_64 3
		.amdhsa_fp16_overflow 0
		.amdhsa_memory_ordered 1
		.amdhsa_forward_progress 1
		.amdhsa_inst_pref_size 19
		.amdhsa_round_robin_scheduling 0
		.amdhsa_exception_fp_ieee_invalid_op 0
		.amdhsa_exception_fp_denorm_src 0
		.amdhsa_exception_fp_ieee_div_zero 0
		.amdhsa_exception_fp_ieee_overflow 0
		.amdhsa_exception_fp_ieee_underflow 0
		.amdhsa_exception_fp_ieee_inexact 0
		.amdhsa_exception_int_div_zero 0
	.end_amdhsa_kernel
	.section	.text._ZN7rocprim17ROCPRIM_400000_NS6detail17trampoline_kernelINS0_14default_configENS1_20scan_config_selectorIjEEZZNS1_9scan_implILNS1_25lookback_scan_determinismE0ELb1ELb1ES3_PjS8_jN6hipcub16HIPCUB_304000_NS3SumEjEEDaPvRmT3_T4_T5_mT6_P12ihipStream_tbENKUlT_T0_E_clISt17integral_constantIbLb0EESP_EEDaSK_SL_EUlSK_E0_NS1_11comp_targetILNS1_3genE0ELNS1_11target_archE4294967295ELNS1_3gpuE0ELNS1_3repE0EEENS1_30default_config_static_selectorELNS0_4arch9wavefront6targetE0EEEvT1_,"axG",@progbits,_ZN7rocprim17ROCPRIM_400000_NS6detail17trampoline_kernelINS0_14default_configENS1_20scan_config_selectorIjEEZZNS1_9scan_implILNS1_25lookback_scan_determinismE0ELb1ELb1ES3_PjS8_jN6hipcub16HIPCUB_304000_NS3SumEjEEDaPvRmT3_T4_T5_mT6_P12ihipStream_tbENKUlT_T0_E_clISt17integral_constantIbLb0EESP_EEDaSK_SL_EUlSK_E0_NS1_11comp_targetILNS1_3genE0ELNS1_11target_archE4294967295ELNS1_3gpuE0ELNS1_3repE0EEENS1_30default_config_static_selectorELNS0_4arch9wavefront6targetE0EEEvT1_,comdat
.Lfunc_end19:
	.size	_ZN7rocprim17ROCPRIM_400000_NS6detail17trampoline_kernelINS0_14default_configENS1_20scan_config_selectorIjEEZZNS1_9scan_implILNS1_25lookback_scan_determinismE0ELb1ELb1ES3_PjS8_jN6hipcub16HIPCUB_304000_NS3SumEjEEDaPvRmT3_T4_T5_mT6_P12ihipStream_tbENKUlT_T0_E_clISt17integral_constantIbLb0EESP_EEDaSK_SL_EUlSK_E0_NS1_11comp_targetILNS1_3genE0ELNS1_11target_archE4294967295ELNS1_3gpuE0ELNS1_3repE0EEENS1_30default_config_static_selectorELNS0_4arch9wavefront6targetE0EEEvT1_, .Lfunc_end19-_ZN7rocprim17ROCPRIM_400000_NS6detail17trampoline_kernelINS0_14default_configENS1_20scan_config_selectorIjEEZZNS1_9scan_implILNS1_25lookback_scan_determinismE0ELb1ELb1ES3_PjS8_jN6hipcub16HIPCUB_304000_NS3SumEjEEDaPvRmT3_T4_T5_mT6_P12ihipStream_tbENKUlT_T0_E_clISt17integral_constantIbLb0EESP_EEDaSK_SL_EUlSK_E0_NS1_11comp_targetILNS1_3genE0ELNS1_11target_archE4294967295ELNS1_3gpuE0ELNS1_3repE0EEENS1_30default_config_static_selectorELNS0_4arch9wavefront6targetE0EEEvT1_
                                        ; -- End function
	.set _ZN7rocprim17ROCPRIM_400000_NS6detail17trampoline_kernelINS0_14default_configENS1_20scan_config_selectorIjEEZZNS1_9scan_implILNS1_25lookback_scan_determinismE0ELb1ELb1ES3_PjS8_jN6hipcub16HIPCUB_304000_NS3SumEjEEDaPvRmT3_T4_T5_mT6_P12ihipStream_tbENKUlT_T0_E_clISt17integral_constantIbLb0EESP_EEDaSK_SL_EUlSK_E0_NS1_11comp_targetILNS1_3genE0ELNS1_11target_archE4294967295ELNS1_3gpuE0ELNS1_3repE0EEENS1_30default_config_static_selectorELNS0_4arch9wavefront6targetE0EEEvT1_.num_vgpr, 22
	.set _ZN7rocprim17ROCPRIM_400000_NS6detail17trampoline_kernelINS0_14default_configENS1_20scan_config_selectorIjEEZZNS1_9scan_implILNS1_25lookback_scan_determinismE0ELb1ELb1ES3_PjS8_jN6hipcub16HIPCUB_304000_NS3SumEjEEDaPvRmT3_T4_T5_mT6_P12ihipStream_tbENKUlT_T0_E_clISt17integral_constantIbLb0EESP_EEDaSK_SL_EUlSK_E0_NS1_11comp_targetILNS1_3genE0ELNS1_11target_archE4294967295ELNS1_3gpuE0ELNS1_3repE0EEENS1_30default_config_static_selectorELNS0_4arch9wavefront6targetE0EEEvT1_.num_agpr, 0
	.set _ZN7rocprim17ROCPRIM_400000_NS6detail17trampoline_kernelINS0_14default_configENS1_20scan_config_selectorIjEEZZNS1_9scan_implILNS1_25lookback_scan_determinismE0ELb1ELb1ES3_PjS8_jN6hipcub16HIPCUB_304000_NS3SumEjEEDaPvRmT3_T4_T5_mT6_P12ihipStream_tbENKUlT_T0_E_clISt17integral_constantIbLb0EESP_EEDaSK_SL_EUlSK_E0_NS1_11comp_targetILNS1_3genE0ELNS1_11target_archE4294967295ELNS1_3gpuE0ELNS1_3repE0EEENS1_30default_config_static_selectorELNS0_4arch9wavefront6targetE0EEEvT1_.numbered_sgpr, 20
	.set _ZN7rocprim17ROCPRIM_400000_NS6detail17trampoline_kernelINS0_14default_configENS1_20scan_config_selectorIjEEZZNS1_9scan_implILNS1_25lookback_scan_determinismE0ELb1ELb1ES3_PjS8_jN6hipcub16HIPCUB_304000_NS3SumEjEEDaPvRmT3_T4_T5_mT6_P12ihipStream_tbENKUlT_T0_E_clISt17integral_constantIbLb0EESP_EEDaSK_SL_EUlSK_E0_NS1_11comp_targetILNS1_3genE0ELNS1_11target_archE4294967295ELNS1_3gpuE0ELNS1_3repE0EEENS1_30default_config_static_selectorELNS0_4arch9wavefront6targetE0EEEvT1_.num_named_barrier, 0
	.set _ZN7rocprim17ROCPRIM_400000_NS6detail17trampoline_kernelINS0_14default_configENS1_20scan_config_selectorIjEEZZNS1_9scan_implILNS1_25lookback_scan_determinismE0ELb1ELb1ES3_PjS8_jN6hipcub16HIPCUB_304000_NS3SumEjEEDaPvRmT3_T4_T5_mT6_P12ihipStream_tbENKUlT_T0_E_clISt17integral_constantIbLb0EESP_EEDaSK_SL_EUlSK_E0_NS1_11comp_targetILNS1_3genE0ELNS1_11target_archE4294967295ELNS1_3gpuE0ELNS1_3repE0EEENS1_30default_config_static_selectorELNS0_4arch9wavefront6targetE0EEEvT1_.private_seg_size, 0
	.set _ZN7rocprim17ROCPRIM_400000_NS6detail17trampoline_kernelINS0_14default_configENS1_20scan_config_selectorIjEEZZNS1_9scan_implILNS1_25lookback_scan_determinismE0ELb1ELb1ES3_PjS8_jN6hipcub16HIPCUB_304000_NS3SumEjEEDaPvRmT3_T4_T5_mT6_P12ihipStream_tbENKUlT_T0_E_clISt17integral_constantIbLb0EESP_EEDaSK_SL_EUlSK_E0_NS1_11comp_targetILNS1_3genE0ELNS1_11target_archE4294967295ELNS1_3gpuE0ELNS1_3repE0EEENS1_30default_config_static_selectorELNS0_4arch9wavefront6targetE0EEEvT1_.uses_vcc, 1
	.set _ZN7rocprim17ROCPRIM_400000_NS6detail17trampoline_kernelINS0_14default_configENS1_20scan_config_selectorIjEEZZNS1_9scan_implILNS1_25lookback_scan_determinismE0ELb1ELb1ES3_PjS8_jN6hipcub16HIPCUB_304000_NS3SumEjEEDaPvRmT3_T4_T5_mT6_P12ihipStream_tbENKUlT_T0_E_clISt17integral_constantIbLb0EESP_EEDaSK_SL_EUlSK_E0_NS1_11comp_targetILNS1_3genE0ELNS1_11target_archE4294967295ELNS1_3gpuE0ELNS1_3repE0EEENS1_30default_config_static_selectorELNS0_4arch9wavefront6targetE0EEEvT1_.uses_flat_scratch, 0
	.set _ZN7rocprim17ROCPRIM_400000_NS6detail17trampoline_kernelINS0_14default_configENS1_20scan_config_selectorIjEEZZNS1_9scan_implILNS1_25lookback_scan_determinismE0ELb1ELb1ES3_PjS8_jN6hipcub16HIPCUB_304000_NS3SumEjEEDaPvRmT3_T4_T5_mT6_P12ihipStream_tbENKUlT_T0_E_clISt17integral_constantIbLb0EESP_EEDaSK_SL_EUlSK_E0_NS1_11comp_targetILNS1_3genE0ELNS1_11target_archE4294967295ELNS1_3gpuE0ELNS1_3repE0EEENS1_30default_config_static_selectorELNS0_4arch9wavefront6targetE0EEEvT1_.has_dyn_sized_stack, 0
	.set _ZN7rocprim17ROCPRIM_400000_NS6detail17trampoline_kernelINS0_14default_configENS1_20scan_config_selectorIjEEZZNS1_9scan_implILNS1_25lookback_scan_determinismE0ELb1ELb1ES3_PjS8_jN6hipcub16HIPCUB_304000_NS3SumEjEEDaPvRmT3_T4_T5_mT6_P12ihipStream_tbENKUlT_T0_E_clISt17integral_constantIbLb0EESP_EEDaSK_SL_EUlSK_E0_NS1_11comp_targetILNS1_3genE0ELNS1_11target_archE4294967295ELNS1_3gpuE0ELNS1_3repE0EEENS1_30default_config_static_selectorELNS0_4arch9wavefront6targetE0EEEvT1_.has_recursion, 0
	.set _ZN7rocprim17ROCPRIM_400000_NS6detail17trampoline_kernelINS0_14default_configENS1_20scan_config_selectorIjEEZZNS1_9scan_implILNS1_25lookback_scan_determinismE0ELb1ELb1ES3_PjS8_jN6hipcub16HIPCUB_304000_NS3SumEjEEDaPvRmT3_T4_T5_mT6_P12ihipStream_tbENKUlT_T0_E_clISt17integral_constantIbLb0EESP_EEDaSK_SL_EUlSK_E0_NS1_11comp_targetILNS1_3genE0ELNS1_11target_archE4294967295ELNS1_3gpuE0ELNS1_3repE0EEENS1_30default_config_static_selectorELNS0_4arch9wavefront6targetE0EEEvT1_.has_indirect_call, 0
	.section	.AMDGPU.csdata,"",@progbits
; Kernel info:
; codeLenInByte = 2320
; TotalNumSgprs: 22
; NumVgprs: 22
; ScratchSize: 0
; MemoryBound: 0
; FloatMode: 240
; IeeeMode: 1
; LDSByteSize: 14336 bytes/workgroup (compile time only)
; SGPRBlocks: 0
; VGPRBlocks: 1
; NumSGPRsForWavesPerEU: 22
; NumVGPRsForWavesPerEU: 22
; NamedBarCnt: 0
; Occupancy: 16
; WaveLimiterHint : 0
; COMPUTE_PGM_RSRC2:SCRATCH_EN: 0
; COMPUTE_PGM_RSRC2:USER_SGPR: 2
; COMPUTE_PGM_RSRC2:TRAP_HANDLER: 0
; COMPUTE_PGM_RSRC2:TGID_X_EN: 1
; COMPUTE_PGM_RSRC2:TGID_Y_EN: 0
; COMPUTE_PGM_RSRC2:TGID_Z_EN: 0
; COMPUTE_PGM_RSRC2:TIDIG_COMP_CNT: 0
	.section	.text._ZN7rocprim17ROCPRIM_400000_NS6detail17trampoline_kernelINS0_14default_configENS1_20scan_config_selectorIjEEZZNS1_9scan_implILNS1_25lookback_scan_determinismE0ELb1ELb1ES3_PjS8_jN6hipcub16HIPCUB_304000_NS3SumEjEEDaPvRmT3_T4_T5_mT6_P12ihipStream_tbENKUlT_T0_E_clISt17integral_constantIbLb0EESP_EEDaSK_SL_EUlSK_E0_NS1_11comp_targetILNS1_3genE5ELNS1_11target_archE942ELNS1_3gpuE9ELNS1_3repE0EEENS1_30default_config_static_selectorELNS0_4arch9wavefront6targetE0EEEvT1_,"axG",@progbits,_ZN7rocprim17ROCPRIM_400000_NS6detail17trampoline_kernelINS0_14default_configENS1_20scan_config_selectorIjEEZZNS1_9scan_implILNS1_25lookback_scan_determinismE0ELb1ELb1ES3_PjS8_jN6hipcub16HIPCUB_304000_NS3SumEjEEDaPvRmT3_T4_T5_mT6_P12ihipStream_tbENKUlT_T0_E_clISt17integral_constantIbLb0EESP_EEDaSK_SL_EUlSK_E0_NS1_11comp_targetILNS1_3genE5ELNS1_11target_archE942ELNS1_3gpuE9ELNS1_3repE0EEENS1_30default_config_static_selectorELNS0_4arch9wavefront6targetE0EEEvT1_,comdat
	.protected	_ZN7rocprim17ROCPRIM_400000_NS6detail17trampoline_kernelINS0_14default_configENS1_20scan_config_selectorIjEEZZNS1_9scan_implILNS1_25lookback_scan_determinismE0ELb1ELb1ES3_PjS8_jN6hipcub16HIPCUB_304000_NS3SumEjEEDaPvRmT3_T4_T5_mT6_P12ihipStream_tbENKUlT_T0_E_clISt17integral_constantIbLb0EESP_EEDaSK_SL_EUlSK_E0_NS1_11comp_targetILNS1_3genE5ELNS1_11target_archE942ELNS1_3gpuE9ELNS1_3repE0EEENS1_30default_config_static_selectorELNS0_4arch9wavefront6targetE0EEEvT1_ ; -- Begin function _ZN7rocprim17ROCPRIM_400000_NS6detail17trampoline_kernelINS0_14default_configENS1_20scan_config_selectorIjEEZZNS1_9scan_implILNS1_25lookback_scan_determinismE0ELb1ELb1ES3_PjS8_jN6hipcub16HIPCUB_304000_NS3SumEjEEDaPvRmT3_T4_T5_mT6_P12ihipStream_tbENKUlT_T0_E_clISt17integral_constantIbLb0EESP_EEDaSK_SL_EUlSK_E0_NS1_11comp_targetILNS1_3genE5ELNS1_11target_archE942ELNS1_3gpuE9ELNS1_3repE0EEENS1_30default_config_static_selectorELNS0_4arch9wavefront6targetE0EEEvT1_
	.globl	_ZN7rocprim17ROCPRIM_400000_NS6detail17trampoline_kernelINS0_14default_configENS1_20scan_config_selectorIjEEZZNS1_9scan_implILNS1_25lookback_scan_determinismE0ELb1ELb1ES3_PjS8_jN6hipcub16HIPCUB_304000_NS3SumEjEEDaPvRmT3_T4_T5_mT6_P12ihipStream_tbENKUlT_T0_E_clISt17integral_constantIbLb0EESP_EEDaSK_SL_EUlSK_E0_NS1_11comp_targetILNS1_3genE5ELNS1_11target_archE942ELNS1_3gpuE9ELNS1_3repE0EEENS1_30default_config_static_selectorELNS0_4arch9wavefront6targetE0EEEvT1_
	.p2align	8
	.type	_ZN7rocprim17ROCPRIM_400000_NS6detail17trampoline_kernelINS0_14default_configENS1_20scan_config_selectorIjEEZZNS1_9scan_implILNS1_25lookback_scan_determinismE0ELb1ELb1ES3_PjS8_jN6hipcub16HIPCUB_304000_NS3SumEjEEDaPvRmT3_T4_T5_mT6_P12ihipStream_tbENKUlT_T0_E_clISt17integral_constantIbLb0EESP_EEDaSK_SL_EUlSK_E0_NS1_11comp_targetILNS1_3genE5ELNS1_11target_archE942ELNS1_3gpuE9ELNS1_3repE0EEENS1_30default_config_static_selectorELNS0_4arch9wavefront6targetE0EEEvT1_,@function
_ZN7rocprim17ROCPRIM_400000_NS6detail17trampoline_kernelINS0_14default_configENS1_20scan_config_selectorIjEEZZNS1_9scan_implILNS1_25lookback_scan_determinismE0ELb1ELb1ES3_PjS8_jN6hipcub16HIPCUB_304000_NS3SumEjEEDaPvRmT3_T4_T5_mT6_P12ihipStream_tbENKUlT_T0_E_clISt17integral_constantIbLb0EESP_EEDaSK_SL_EUlSK_E0_NS1_11comp_targetILNS1_3genE5ELNS1_11target_archE942ELNS1_3gpuE9ELNS1_3repE0EEENS1_30default_config_static_selectorELNS0_4arch9wavefront6targetE0EEEvT1_: ; @_ZN7rocprim17ROCPRIM_400000_NS6detail17trampoline_kernelINS0_14default_configENS1_20scan_config_selectorIjEEZZNS1_9scan_implILNS1_25lookback_scan_determinismE0ELb1ELb1ES3_PjS8_jN6hipcub16HIPCUB_304000_NS3SumEjEEDaPvRmT3_T4_T5_mT6_P12ihipStream_tbENKUlT_T0_E_clISt17integral_constantIbLb0EESP_EEDaSK_SL_EUlSK_E0_NS1_11comp_targetILNS1_3genE5ELNS1_11target_archE942ELNS1_3gpuE9ELNS1_3repE0EEENS1_30default_config_static_selectorELNS0_4arch9wavefront6targetE0EEEvT1_
; %bb.0:
	.section	.rodata,"a",@progbits
	.p2align	6, 0x0
	.amdhsa_kernel _ZN7rocprim17ROCPRIM_400000_NS6detail17trampoline_kernelINS0_14default_configENS1_20scan_config_selectorIjEEZZNS1_9scan_implILNS1_25lookback_scan_determinismE0ELb1ELb1ES3_PjS8_jN6hipcub16HIPCUB_304000_NS3SumEjEEDaPvRmT3_T4_T5_mT6_P12ihipStream_tbENKUlT_T0_E_clISt17integral_constantIbLb0EESP_EEDaSK_SL_EUlSK_E0_NS1_11comp_targetILNS1_3genE5ELNS1_11target_archE942ELNS1_3gpuE9ELNS1_3repE0EEENS1_30default_config_static_selectorELNS0_4arch9wavefront6targetE0EEEvT1_
		.amdhsa_group_segment_fixed_size 0
		.amdhsa_private_segment_fixed_size 0
		.amdhsa_kernarg_size 32
		.amdhsa_user_sgpr_count 2
		.amdhsa_user_sgpr_dispatch_ptr 0
		.amdhsa_user_sgpr_queue_ptr 0
		.amdhsa_user_sgpr_kernarg_segment_ptr 1
		.amdhsa_user_sgpr_dispatch_id 0
		.amdhsa_user_sgpr_kernarg_preload_length 0
		.amdhsa_user_sgpr_kernarg_preload_offset 0
		.amdhsa_user_sgpr_private_segment_size 0
		.amdhsa_wavefront_size32 1
		.amdhsa_uses_dynamic_stack 0
		.amdhsa_enable_private_segment 0
		.amdhsa_system_sgpr_workgroup_id_x 1
		.amdhsa_system_sgpr_workgroup_id_y 0
		.amdhsa_system_sgpr_workgroup_id_z 0
		.amdhsa_system_sgpr_workgroup_info 0
		.amdhsa_system_vgpr_workitem_id 0
		.amdhsa_next_free_vgpr 1
		.amdhsa_next_free_sgpr 1
		.amdhsa_named_barrier_count 0
		.amdhsa_reserve_vcc 0
		.amdhsa_float_round_mode_32 0
		.amdhsa_float_round_mode_16_64 0
		.amdhsa_float_denorm_mode_32 3
		.amdhsa_float_denorm_mode_16_64 3
		.amdhsa_fp16_overflow 0
		.amdhsa_memory_ordered 1
		.amdhsa_forward_progress 1
		.amdhsa_inst_pref_size 0
		.amdhsa_round_robin_scheduling 0
		.amdhsa_exception_fp_ieee_invalid_op 0
		.amdhsa_exception_fp_denorm_src 0
		.amdhsa_exception_fp_ieee_div_zero 0
		.amdhsa_exception_fp_ieee_overflow 0
		.amdhsa_exception_fp_ieee_underflow 0
		.amdhsa_exception_fp_ieee_inexact 0
		.amdhsa_exception_int_div_zero 0
	.end_amdhsa_kernel
	.section	.text._ZN7rocprim17ROCPRIM_400000_NS6detail17trampoline_kernelINS0_14default_configENS1_20scan_config_selectorIjEEZZNS1_9scan_implILNS1_25lookback_scan_determinismE0ELb1ELb1ES3_PjS8_jN6hipcub16HIPCUB_304000_NS3SumEjEEDaPvRmT3_T4_T5_mT6_P12ihipStream_tbENKUlT_T0_E_clISt17integral_constantIbLb0EESP_EEDaSK_SL_EUlSK_E0_NS1_11comp_targetILNS1_3genE5ELNS1_11target_archE942ELNS1_3gpuE9ELNS1_3repE0EEENS1_30default_config_static_selectorELNS0_4arch9wavefront6targetE0EEEvT1_,"axG",@progbits,_ZN7rocprim17ROCPRIM_400000_NS6detail17trampoline_kernelINS0_14default_configENS1_20scan_config_selectorIjEEZZNS1_9scan_implILNS1_25lookback_scan_determinismE0ELb1ELb1ES3_PjS8_jN6hipcub16HIPCUB_304000_NS3SumEjEEDaPvRmT3_T4_T5_mT6_P12ihipStream_tbENKUlT_T0_E_clISt17integral_constantIbLb0EESP_EEDaSK_SL_EUlSK_E0_NS1_11comp_targetILNS1_3genE5ELNS1_11target_archE942ELNS1_3gpuE9ELNS1_3repE0EEENS1_30default_config_static_selectorELNS0_4arch9wavefront6targetE0EEEvT1_,comdat
.Lfunc_end20:
	.size	_ZN7rocprim17ROCPRIM_400000_NS6detail17trampoline_kernelINS0_14default_configENS1_20scan_config_selectorIjEEZZNS1_9scan_implILNS1_25lookback_scan_determinismE0ELb1ELb1ES3_PjS8_jN6hipcub16HIPCUB_304000_NS3SumEjEEDaPvRmT3_T4_T5_mT6_P12ihipStream_tbENKUlT_T0_E_clISt17integral_constantIbLb0EESP_EEDaSK_SL_EUlSK_E0_NS1_11comp_targetILNS1_3genE5ELNS1_11target_archE942ELNS1_3gpuE9ELNS1_3repE0EEENS1_30default_config_static_selectorELNS0_4arch9wavefront6targetE0EEEvT1_, .Lfunc_end20-_ZN7rocprim17ROCPRIM_400000_NS6detail17trampoline_kernelINS0_14default_configENS1_20scan_config_selectorIjEEZZNS1_9scan_implILNS1_25lookback_scan_determinismE0ELb1ELb1ES3_PjS8_jN6hipcub16HIPCUB_304000_NS3SumEjEEDaPvRmT3_T4_T5_mT6_P12ihipStream_tbENKUlT_T0_E_clISt17integral_constantIbLb0EESP_EEDaSK_SL_EUlSK_E0_NS1_11comp_targetILNS1_3genE5ELNS1_11target_archE942ELNS1_3gpuE9ELNS1_3repE0EEENS1_30default_config_static_selectorELNS0_4arch9wavefront6targetE0EEEvT1_
                                        ; -- End function
	.set _ZN7rocprim17ROCPRIM_400000_NS6detail17trampoline_kernelINS0_14default_configENS1_20scan_config_selectorIjEEZZNS1_9scan_implILNS1_25lookback_scan_determinismE0ELb1ELb1ES3_PjS8_jN6hipcub16HIPCUB_304000_NS3SumEjEEDaPvRmT3_T4_T5_mT6_P12ihipStream_tbENKUlT_T0_E_clISt17integral_constantIbLb0EESP_EEDaSK_SL_EUlSK_E0_NS1_11comp_targetILNS1_3genE5ELNS1_11target_archE942ELNS1_3gpuE9ELNS1_3repE0EEENS1_30default_config_static_selectorELNS0_4arch9wavefront6targetE0EEEvT1_.num_vgpr, 0
	.set _ZN7rocprim17ROCPRIM_400000_NS6detail17trampoline_kernelINS0_14default_configENS1_20scan_config_selectorIjEEZZNS1_9scan_implILNS1_25lookback_scan_determinismE0ELb1ELb1ES3_PjS8_jN6hipcub16HIPCUB_304000_NS3SumEjEEDaPvRmT3_T4_T5_mT6_P12ihipStream_tbENKUlT_T0_E_clISt17integral_constantIbLb0EESP_EEDaSK_SL_EUlSK_E0_NS1_11comp_targetILNS1_3genE5ELNS1_11target_archE942ELNS1_3gpuE9ELNS1_3repE0EEENS1_30default_config_static_selectorELNS0_4arch9wavefront6targetE0EEEvT1_.num_agpr, 0
	.set _ZN7rocprim17ROCPRIM_400000_NS6detail17trampoline_kernelINS0_14default_configENS1_20scan_config_selectorIjEEZZNS1_9scan_implILNS1_25lookback_scan_determinismE0ELb1ELb1ES3_PjS8_jN6hipcub16HIPCUB_304000_NS3SumEjEEDaPvRmT3_T4_T5_mT6_P12ihipStream_tbENKUlT_T0_E_clISt17integral_constantIbLb0EESP_EEDaSK_SL_EUlSK_E0_NS1_11comp_targetILNS1_3genE5ELNS1_11target_archE942ELNS1_3gpuE9ELNS1_3repE0EEENS1_30default_config_static_selectorELNS0_4arch9wavefront6targetE0EEEvT1_.numbered_sgpr, 0
	.set _ZN7rocprim17ROCPRIM_400000_NS6detail17trampoline_kernelINS0_14default_configENS1_20scan_config_selectorIjEEZZNS1_9scan_implILNS1_25lookback_scan_determinismE0ELb1ELb1ES3_PjS8_jN6hipcub16HIPCUB_304000_NS3SumEjEEDaPvRmT3_T4_T5_mT6_P12ihipStream_tbENKUlT_T0_E_clISt17integral_constantIbLb0EESP_EEDaSK_SL_EUlSK_E0_NS1_11comp_targetILNS1_3genE5ELNS1_11target_archE942ELNS1_3gpuE9ELNS1_3repE0EEENS1_30default_config_static_selectorELNS0_4arch9wavefront6targetE0EEEvT1_.num_named_barrier, 0
	.set _ZN7rocprim17ROCPRIM_400000_NS6detail17trampoline_kernelINS0_14default_configENS1_20scan_config_selectorIjEEZZNS1_9scan_implILNS1_25lookback_scan_determinismE0ELb1ELb1ES3_PjS8_jN6hipcub16HIPCUB_304000_NS3SumEjEEDaPvRmT3_T4_T5_mT6_P12ihipStream_tbENKUlT_T0_E_clISt17integral_constantIbLb0EESP_EEDaSK_SL_EUlSK_E0_NS1_11comp_targetILNS1_3genE5ELNS1_11target_archE942ELNS1_3gpuE9ELNS1_3repE0EEENS1_30default_config_static_selectorELNS0_4arch9wavefront6targetE0EEEvT1_.private_seg_size, 0
	.set _ZN7rocprim17ROCPRIM_400000_NS6detail17trampoline_kernelINS0_14default_configENS1_20scan_config_selectorIjEEZZNS1_9scan_implILNS1_25lookback_scan_determinismE0ELb1ELb1ES3_PjS8_jN6hipcub16HIPCUB_304000_NS3SumEjEEDaPvRmT3_T4_T5_mT6_P12ihipStream_tbENKUlT_T0_E_clISt17integral_constantIbLb0EESP_EEDaSK_SL_EUlSK_E0_NS1_11comp_targetILNS1_3genE5ELNS1_11target_archE942ELNS1_3gpuE9ELNS1_3repE0EEENS1_30default_config_static_selectorELNS0_4arch9wavefront6targetE0EEEvT1_.uses_vcc, 0
	.set _ZN7rocprim17ROCPRIM_400000_NS6detail17trampoline_kernelINS0_14default_configENS1_20scan_config_selectorIjEEZZNS1_9scan_implILNS1_25lookback_scan_determinismE0ELb1ELb1ES3_PjS8_jN6hipcub16HIPCUB_304000_NS3SumEjEEDaPvRmT3_T4_T5_mT6_P12ihipStream_tbENKUlT_T0_E_clISt17integral_constantIbLb0EESP_EEDaSK_SL_EUlSK_E0_NS1_11comp_targetILNS1_3genE5ELNS1_11target_archE942ELNS1_3gpuE9ELNS1_3repE0EEENS1_30default_config_static_selectorELNS0_4arch9wavefront6targetE0EEEvT1_.uses_flat_scratch, 0
	.set _ZN7rocprim17ROCPRIM_400000_NS6detail17trampoline_kernelINS0_14default_configENS1_20scan_config_selectorIjEEZZNS1_9scan_implILNS1_25lookback_scan_determinismE0ELb1ELb1ES3_PjS8_jN6hipcub16HIPCUB_304000_NS3SumEjEEDaPvRmT3_T4_T5_mT6_P12ihipStream_tbENKUlT_T0_E_clISt17integral_constantIbLb0EESP_EEDaSK_SL_EUlSK_E0_NS1_11comp_targetILNS1_3genE5ELNS1_11target_archE942ELNS1_3gpuE9ELNS1_3repE0EEENS1_30default_config_static_selectorELNS0_4arch9wavefront6targetE0EEEvT1_.has_dyn_sized_stack, 0
	.set _ZN7rocprim17ROCPRIM_400000_NS6detail17trampoline_kernelINS0_14default_configENS1_20scan_config_selectorIjEEZZNS1_9scan_implILNS1_25lookback_scan_determinismE0ELb1ELb1ES3_PjS8_jN6hipcub16HIPCUB_304000_NS3SumEjEEDaPvRmT3_T4_T5_mT6_P12ihipStream_tbENKUlT_T0_E_clISt17integral_constantIbLb0EESP_EEDaSK_SL_EUlSK_E0_NS1_11comp_targetILNS1_3genE5ELNS1_11target_archE942ELNS1_3gpuE9ELNS1_3repE0EEENS1_30default_config_static_selectorELNS0_4arch9wavefront6targetE0EEEvT1_.has_recursion, 0
	.set _ZN7rocprim17ROCPRIM_400000_NS6detail17trampoline_kernelINS0_14default_configENS1_20scan_config_selectorIjEEZZNS1_9scan_implILNS1_25lookback_scan_determinismE0ELb1ELb1ES3_PjS8_jN6hipcub16HIPCUB_304000_NS3SumEjEEDaPvRmT3_T4_T5_mT6_P12ihipStream_tbENKUlT_T0_E_clISt17integral_constantIbLb0EESP_EEDaSK_SL_EUlSK_E0_NS1_11comp_targetILNS1_3genE5ELNS1_11target_archE942ELNS1_3gpuE9ELNS1_3repE0EEENS1_30default_config_static_selectorELNS0_4arch9wavefront6targetE0EEEvT1_.has_indirect_call, 0
	.section	.AMDGPU.csdata,"",@progbits
; Kernel info:
; codeLenInByte = 0
; TotalNumSgprs: 0
; NumVgprs: 0
; ScratchSize: 0
; MemoryBound: 0
; FloatMode: 240
; IeeeMode: 1
; LDSByteSize: 0 bytes/workgroup (compile time only)
; SGPRBlocks: 0
; VGPRBlocks: 0
; NumSGPRsForWavesPerEU: 1
; NumVGPRsForWavesPerEU: 1
; NamedBarCnt: 0
; Occupancy: 16
; WaveLimiterHint : 0
; COMPUTE_PGM_RSRC2:SCRATCH_EN: 0
; COMPUTE_PGM_RSRC2:USER_SGPR: 2
; COMPUTE_PGM_RSRC2:TRAP_HANDLER: 0
; COMPUTE_PGM_RSRC2:TGID_X_EN: 1
; COMPUTE_PGM_RSRC2:TGID_Y_EN: 0
; COMPUTE_PGM_RSRC2:TGID_Z_EN: 0
; COMPUTE_PGM_RSRC2:TIDIG_COMP_CNT: 0
	.section	.text._ZN7rocprim17ROCPRIM_400000_NS6detail17trampoline_kernelINS0_14default_configENS1_20scan_config_selectorIjEEZZNS1_9scan_implILNS1_25lookback_scan_determinismE0ELb1ELb1ES3_PjS8_jN6hipcub16HIPCUB_304000_NS3SumEjEEDaPvRmT3_T4_T5_mT6_P12ihipStream_tbENKUlT_T0_E_clISt17integral_constantIbLb0EESP_EEDaSK_SL_EUlSK_E0_NS1_11comp_targetILNS1_3genE4ELNS1_11target_archE910ELNS1_3gpuE8ELNS1_3repE0EEENS1_30default_config_static_selectorELNS0_4arch9wavefront6targetE0EEEvT1_,"axG",@progbits,_ZN7rocprim17ROCPRIM_400000_NS6detail17trampoline_kernelINS0_14default_configENS1_20scan_config_selectorIjEEZZNS1_9scan_implILNS1_25lookback_scan_determinismE0ELb1ELb1ES3_PjS8_jN6hipcub16HIPCUB_304000_NS3SumEjEEDaPvRmT3_T4_T5_mT6_P12ihipStream_tbENKUlT_T0_E_clISt17integral_constantIbLb0EESP_EEDaSK_SL_EUlSK_E0_NS1_11comp_targetILNS1_3genE4ELNS1_11target_archE910ELNS1_3gpuE8ELNS1_3repE0EEENS1_30default_config_static_selectorELNS0_4arch9wavefront6targetE0EEEvT1_,comdat
	.protected	_ZN7rocprim17ROCPRIM_400000_NS6detail17trampoline_kernelINS0_14default_configENS1_20scan_config_selectorIjEEZZNS1_9scan_implILNS1_25lookback_scan_determinismE0ELb1ELb1ES3_PjS8_jN6hipcub16HIPCUB_304000_NS3SumEjEEDaPvRmT3_T4_T5_mT6_P12ihipStream_tbENKUlT_T0_E_clISt17integral_constantIbLb0EESP_EEDaSK_SL_EUlSK_E0_NS1_11comp_targetILNS1_3genE4ELNS1_11target_archE910ELNS1_3gpuE8ELNS1_3repE0EEENS1_30default_config_static_selectorELNS0_4arch9wavefront6targetE0EEEvT1_ ; -- Begin function _ZN7rocprim17ROCPRIM_400000_NS6detail17trampoline_kernelINS0_14default_configENS1_20scan_config_selectorIjEEZZNS1_9scan_implILNS1_25lookback_scan_determinismE0ELb1ELb1ES3_PjS8_jN6hipcub16HIPCUB_304000_NS3SumEjEEDaPvRmT3_T4_T5_mT6_P12ihipStream_tbENKUlT_T0_E_clISt17integral_constantIbLb0EESP_EEDaSK_SL_EUlSK_E0_NS1_11comp_targetILNS1_3genE4ELNS1_11target_archE910ELNS1_3gpuE8ELNS1_3repE0EEENS1_30default_config_static_selectorELNS0_4arch9wavefront6targetE0EEEvT1_
	.globl	_ZN7rocprim17ROCPRIM_400000_NS6detail17trampoline_kernelINS0_14default_configENS1_20scan_config_selectorIjEEZZNS1_9scan_implILNS1_25lookback_scan_determinismE0ELb1ELb1ES3_PjS8_jN6hipcub16HIPCUB_304000_NS3SumEjEEDaPvRmT3_T4_T5_mT6_P12ihipStream_tbENKUlT_T0_E_clISt17integral_constantIbLb0EESP_EEDaSK_SL_EUlSK_E0_NS1_11comp_targetILNS1_3genE4ELNS1_11target_archE910ELNS1_3gpuE8ELNS1_3repE0EEENS1_30default_config_static_selectorELNS0_4arch9wavefront6targetE0EEEvT1_
	.p2align	8
	.type	_ZN7rocprim17ROCPRIM_400000_NS6detail17trampoline_kernelINS0_14default_configENS1_20scan_config_selectorIjEEZZNS1_9scan_implILNS1_25lookback_scan_determinismE0ELb1ELb1ES3_PjS8_jN6hipcub16HIPCUB_304000_NS3SumEjEEDaPvRmT3_T4_T5_mT6_P12ihipStream_tbENKUlT_T0_E_clISt17integral_constantIbLb0EESP_EEDaSK_SL_EUlSK_E0_NS1_11comp_targetILNS1_3genE4ELNS1_11target_archE910ELNS1_3gpuE8ELNS1_3repE0EEENS1_30default_config_static_selectorELNS0_4arch9wavefront6targetE0EEEvT1_,@function
_ZN7rocprim17ROCPRIM_400000_NS6detail17trampoline_kernelINS0_14default_configENS1_20scan_config_selectorIjEEZZNS1_9scan_implILNS1_25lookback_scan_determinismE0ELb1ELb1ES3_PjS8_jN6hipcub16HIPCUB_304000_NS3SumEjEEDaPvRmT3_T4_T5_mT6_P12ihipStream_tbENKUlT_T0_E_clISt17integral_constantIbLb0EESP_EEDaSK_SL_EUlSK_E0_NS1_11comp_targetILNS1_3genE4ELNS1_11target_archE910ELNS1_3gpuE8ELNS1_3repE0EEENS1_30default_config_static_selectorELNS0_4arch9wavefront6targetE0EEEvT1_: ; @_ZN7rocprim17ROCPRIM_400000_NS6detail17trampoline_kernelINS0_14default_configENS1_20scan_config_selectorIjEEZZNS1_9scan_implILNS1_25lookback_scan_determinismE0ELb1ELb1ES3_PjS8_jN6hipcub16HIPCUB_304000_NS3SumEjEEDaPvRmT3_T4_T5_mT6_P12ihipStream_tbENKUlT_T0_E_clISt17integral_constantIbLb0EESP_EEDaSK_SL_EUlSK_E0_NS1_11comp_targetILNS1_3genE4ELNS1_11target_archE910ELNS1_3gpuE8ELNS1_3repE0EEENS1_30default_config_static_selectorELNS0_4arch9wavefront6targetE0EEEvT1_
; %bb.0:
	.section	.rodata,"a",@progbits
	.p2align	6, 0x0
	.amdhsa_kernel _ZN7rocprim17ROCPRIM_400000_NS6detail17trampoline_kernelINS0_14default_configENS1_20scan_config_selectorIjEEZZNS1_9scan_implILNS1_25lookback_scan_determinismE0ELb1ELb1ES3_PjS8_jN6hipcub16HIPCUB_304000_NS3SumEjEEDaPvRmT3_T4_T5_mT6_P12ihipStream_tbENKUlT_T0_E_clISt17integral_constantIbLb0EESP_EEDaSK_SL_EUlSK_E0_NS1_11comp_targetILNS1_3genE4ELNS1_11target_archE910ELNS1_3gpuE8ELNS1_3repE0EEENS1_30default_config_static_selectorELNS0_4arch9wavefront6targetE0EEEvT1_
		.amdhsa_group_segment_fixed_size 0
		.amdhsa_private_segment_fixed_size 0
		.amdhsa_kernarg_size 32
		.amdhsa_user_sgpr_count 2
		.amdhsa_user_sgpr_dispatch_ptr 0
		.amdhsa_user_sgpr_queue_ptr 0
		.amdhsa_user_sgpr_kernarg_segment_ptr 1
		.amdhsa_user_sgpr_dispatch_id 0
		.amdhsa_user_sgpr_kernarg_preload_length 0
		.amdhsa_user_sgpr_kernarg_preload_offset 0
		.amdhsa_user_sgpr_private_segment_size 0
		.amdhsa_wavefront_size32 1
		.amdhsa_uses_dynamic_stack 0
		.amdhsa_enable_private_segment 0
		.amdhsa_system_sgpr_workgroup_id_x 1
		.amdhsa_system_sgpr_workgroup_id_y 0
		.amdhsa_system_sgpr_workgroup_id_z 0
		.amdhsa_system_sgpr_workgroup_info 0
		.amdhsa_system_vgpr_workitem_id 0
		.amdhsa_next_free_vgpr 1
		.amdhsa_next_free_sgpr 1
		.amdhsa_named_barrier_count 0
		.amdhsa_reserve_vcc 0
		.amdhsa_float_round_mode_32 0
		.amdhsa_float_round_mode_16_64 0
		.amdhsa_float_denorm_mode_32 3
		.amdhsa_float_denorm_mode_16_64 3
		.amdhsa_fp16_overflow 0
		.amdhsa_memory_ordered 1
		.amdhsa_forward_progress 1
		.amdhsa_inst_pref_size 0
		.amdhsa_round_robin_scheduling 0
		.amdhsa_exception_fp_ieee_invalid_op 0
		.amdhsa_exception_fp_denorm_src 0
		.amdhsa_exception_fp_ieee_div_zero 0
		.amdhsa_exception_fp_ieee_overflow 0
		.amdhsa_exception_fp_ieee_underflow 0
		.amdhsa_exception_fp_ieee_inexact 0
		.amdhsa_exception_int_div_zero 0
	.end_amdhsa_kernel
	.section	.text._ZN7rocprim17ROCPRIM_400000_NS6detail17trampoline_kernelINS0_14default_configENS1_20scan_config_selectorIjEEZZNS1_9scan_implILNS1_25lookback_scan_determinismE0ELb1ELb1ES3_PjS8_jN6hipcub16HIPCUB_304000_NS3SumEjEEDaPvRmT3_T4_T5_mT6_P12ihipStream_tbENKUlT_T0_E_clISt17integral_constantIbLb0EESP_EEDaSK_SL_EUlSK_E0_NS1_11comp_targetILNS1_3genE4ELNS1_11target_archE910ELNS1_3gpuE8ELNS1_3repE0EEENS1_30default_config_static_selectorELNS0_4arch9wavefront6targetE0EEEvT1_,"axG",@progbits,_ZN7rocprim17ROCPRIM_400000_NS6detail17trampoline_kernelINS0_14default_configENS1_20scan_config_selectorIjEEZZNS1_9scan_implILNS1_25lookback_scan_determinismE0ELb1ELb1ES3_PjS8_jN6hipcub16HIPCUB_304000_NS3SumEjEEDaPvRmT3_T4_T5_mT6_P12ihipStream_tbENKUlT_T0_E_clISt17integral_constantIbLb0EESP_EEDaSK_SL_EUlSK_E0_NS1_11comp_targetILNS1_3genE4ELNS1_11target_archE910ELNS1_3gpuE8ELNS1_3repE0EEENS1_30default_config_static_selectorELNS0_4arch9wavefront6targetE0EEEvT1_,comdat
.Lfunc_end21:
	.size	_ZN7rocprim17ROCPRIM_400000_NS6detail17trampoline_kernelINS0_14default_configENS1_20scan_config_selectorIjEEZZNS1_9scan_implILNS1_25lookback_scan_determinismE0ELb1ELb1ES3_PjS8_jN6hipcub16HIPCUB_304000_NS3SumEjEEDaPvRmT3_T4_T5_mT6_P12ihipStream_tbENKUlT_T0_E_clISt17integral_constantIbLb0EESP_EEDaSK_SL_EUlSK_E0_NS1_11comp_targetILNS1_3genE4ELNS1_11target_archE910ELNS1_3gpuE8ELNS1_3repE0EEENS1_30default_config_static_selectorELNS0_4arch9wavefront6targetE0EEEvT1_, .Lfunc_end21-_ZN7rocprim17ROCPRIM_400000_NS6detail17trampoline_kernelINS0_14default_configENS1_20scan_config_selectorIjEEZZNS1_9scan_implILNS1_25lookback_scan_determinismE0ELb1ELb1ES3_PjS8_jN6hipcub16HIPCUB_304000_NS3SumEjEEDaPvRmT3_T4_T5_mT6_P12ihipStream_tbENKUlT_T0_E_clISt17integral_constantIbLb0EESP_EEDaSK_SL_EUlSK_E0_NS1_11comp_targetILNS1_3genE4ELNS1_11target_archE910ELNS1_3gpuE8ELNS1_3repE0EEENS1_30default_config_static_selectorELNS0_4arch9wavefront6targetE0EEEvT1_
                                        ; -- End function
	.set _ZN7rocprim17ROCPRIM_400000_NS6detail17trampoline_kernelINS0_14default_configENS1_20scan_config_selectorIjEEZZNS1_9scan_implILNS1_25lookback_scan_determinismE0ELb1ELb1ES3_PjS8_jN6hipcub16HIPCUB_304000_NS3SumEjEEDaPvRmT3_T4_T5_mT6_P12ihipStream_tbENKUlT_T0_E_clISt17integral_constantIbLb0EESP_EEDaSK_SL_EUlSK_E0_NS1_11comp_targetILNS1_3genE4ELNS1_11target_archE910ELNS1_3gpuE8ELNS1_3repE0EEENS1_30default_config_static_selectorELNS0_4arch9wavefront6targetE0EEEvT1_.num_vgpr, 0
	.set _ZN7rocprim17ROCPRIM_400000_NS6detail17trampoline_kernelINS0_14default_configENS1_20scan_config_selectorIjEEZZNS1_9scan_implILNS1_25lookback_scan_determinismE0ELb1ELb1ES3_PjS8_jN6hipcub16HIPCUB_304000_NS3SumEjEEDaPvRmT3_T4_T5_mT6_P12ihipStream_tbENKUlT_T0_E_clISt17integral_constantIbLb0EESP_EEDaSK_SL_EUlSK_E0_NS1_11comp_targetILNS1_3genE4ELNS1_11target_archE910ELNS1_3gpuE8ELNS1_3repE0EEENS1_30default_config_static_selectorELNS0_4arch9wavefront6targetE0EEEvT1_.num_agpr, 0
	.set _ZN7rocprim17ROCPRIM_400000_NS6detail17trampoline_kernelINS0_14default_configENS1_20scan_config_selectorIjEEZZNS1_9scan_implILNS1_25lookback_scan_determinismE0ELb1ELb1ES3_PjS8_jN6hipcub16HIPCUB_304000_NS3SumEjEEDaPvRmT3_T4_T5_mT6_P12ihipStream_tbENKUlT_T0_E_clISt17integral_constantIbLb0EESP_EEDaSK_SL_EUlSK_E0_NS1_11comp_targetILNS1_3genE4ELNS1_11target_archE910ELNS1_3gpuE8ELNS1_3repE0EEENS1_30default_config_static_selectorELNS0_4arch9wavefront6targetE0EEEvT1_.numbered_sgpr, 0
	.set _ZN7rocprim17ROCPRIM_400000_NS6detail17trampoline_kernelINS0_14default_configENS1_20scan_config_selectorIjEEZZNS1_9scan_implILNS1_25lookback_scan_determinismE0ELb1ELb1ES3_PjS8_jN6hipcub16HIPCUB_304000_NS3SumEjEEDaPvRmT3_T4_T5_mT6_P12ihipStream_tbENKUlT_T0_E_clISt17integral_constantIbLb0EESP_EEDaSK_SL_EUlSK_E0_NS1_11comp_targetILNS1_3genE4ELNS1_11target_archE910ELNS1_3gpuE8ELNS1_3repE0EEENS1_30default_config_static_selectorELNS0_4arch9wavefront6targetE0EEEvT1_.num_named_barrier, 0
	.set _ZN7rocprim17ROCPRIM_400000_NS6detail17trampoline_kernelINS0_14default_configENS1_20scan_config_selectorIjEEZZNS1_9scan_implILNS1_25lookback_scan_determinismE0ELb1ELb1ES3_PjS8_jN6hipcub16HIPCUB_304000_NS3SumEjEEDaPvRmT3_T4_T5_mT6_P12ihipStream_tbENKUlT_T0_E_clISt17integral_constantIbLb0EESP_EEDaSK_SL_EUlSK_E0_NS1_11comp_targetILNS1_3genE4ELNS1_11target_archE910ELNS1_3gpuE8ELNS1_3repE0EEENS1_30default_config_static_selectorELNS0_4arch9wavefront6targetE0EEEvT1_.private_seg_size, 0
	.set _ZN7rocprim17ROCPRIM_400000_NS6detail17trampoline_kernelINS0_14default_configENS1_20scan_config_selectorIjEEZZNS1_9scan_implILNS1_25lookback_scan_determinismE0ELb1ELb1ES3_PjS8_jN6hipcub16HIPCUB_304000_NS3SumEjEEDaPvRmT3_T4_T5_mT6_P12ihipStream_tbENKUlT_T0_E_clISt17integral_constantIbLb0EESP_EEDaSK_SL_EUlSK_E0_NS1_11comp_targetILNS1_3genE4ELNS1_11target_archE910ELNS1_3gpuE8ELNS1_3repE0EEENS1_30default_config_static_selectorELNS0_4arch9wavefront6targetE0EEEvT1_.uses_vcc, 0
	.set _ZN7rocprim17ROCPRIM_400000_NS6detail17trampoline_kernelINS0_14default_configENS1_20scan_config_selectorIjEEZZNS1_9scan_implILNS1_25lookback_scan_determinismE0ELb1ELb1ES3_PjS8_jN6hipcub16HIPCUB_304000_NS3SumEjEEDaPvRmT3_T4_T5_mT6_P12ihipStream_tbENKUlT_T0_E_clISt17integral_constantIbLb0EESP_EEDaSK_SL_EUlSK_E0_NS1_11comp_targetILNS1_3genE4ELNS1_11target_archE910ELNS1_3gpuE8ELNS1_3repE0EEENS1_30default_config_static_selectorELNS0_4arch9wavefront6targetE0EEEvT1_.uses_flat_scratch, 0
	.set _ZN7rocprim17ROCPRIM_400000_NS6detail17trampoline_kernelINS0_14default_configENS1_20scan_config_selectorIjEEZZNS1_9scan_implILNS1_25lookback_scan_determinismE0ELb1ELb1ES3_PjS8_jN6hipcub16HIPCUB_304000_NS3SumEjEEDaPvRmT3_T4_T5_mT6_P12ihipStream_tbENKUlT_T0_E_clISt17integral_constantIbLb0EESP_EEDaSK_SL_EUlSK_E0_NS1_11comp_targetILNS1_3genE4ELNS1_11target_archE910ELNS1_3gpuE8ELNS1_3repE0EEENS1_30default_config_static_selectorELNS0_4arch9wavefront6targetE0EEEvT1_.has_dyn_sized_stack, 0
	.set _ZN7rocprim17ROCPRIM_400000_NS6detail17trampoline_kernelINS0_14default_configENS1_20scan_config_selectorIjEEZZNS1_9scan_implILNS1_25lookback_scan_determinismE0ELb1ELb1ES3_PjS8_jN6hipcub16HIPCUB_304000_NS3SumEjEEDaPvRmT3_T4_T5_mT6_P12ihipStream_tbENKUlT_T0_E_clISt17integral_constantIbLb0EESP_EEDaSK_SL_EUlSK_E0_NS1_11comp_targetILNS1_3genE4ELNS1_11target_archE910ELNS1_3gpuE8ELNS1_3repE0EEENS1_30default_config_static_selectorELNS0_4arch9wavefront6targetE0EEEvT1_.has_recursion, 0
	.set _ZN7rocprim17ROCPRIM_400000_NS6detail17trampoline_kernelINS0_14default_configENS1_20scan_config_selectorIjEEZZNS1_9scan_implILNS1_25lookback_scan_determinismE0ELb1ELb1ES3_PjS8_jN6hipcub16HIPCUB_304000_NS3SumEjEEDaPvRmT3_T4_T5_mT6_P12ihipStream_tbENKUlT_T0_E_clISt17integral_constantIbLb0EESP_EEDaSK_SL_EUlSK_E0_NS1_11comp_targetILNS1_3genE4ELNS1_11target_archE910ELNS1_3gpuE8ELNS1_3repE0EEENS1_30default_config_static_selectorELNS0_4arch9wavefront6targetE0EEEvT1_.has_indirect_call, 0
	.section	.AMDGPU.csdata,"",@progbits
; Kernel info:
; codeLenInByte = 0
; TotalNumSgprs: 0
; NumVgprs: 0
; ScratchSize: 0
; MemoryBound: 0
; FloatMode: 240
; IeeeMode: 1
; LDSByteSize: 0 bytes/workgroup (compile time only)
; SGPRBlocks: 0
; VGPRBlocks: 0
; NumSGPRsForWavesPerEU: 1
; NumVGPRsForWavesPerEU: 1
; NamedBarCnt: 0
; Occupancy: 16
; WaveLimiterHint : 0
; COMPUTE_PGM_RSRC2:SCRATCH_EN: 0
; COMPUTE_PGM_RSRC2:USER_SGPR: 2
; COMPUTE_PGM_RSRC2:TRAP_HANDLER: 0
; COMPUTE_PGM_RSRC2:TGID_X_EN: 1
; COMPUTE_PGM_RSRC2:TGID_Y_EN: 0
; COMPUTE_PGM_RSRC2:TGID_Z_EN: 0
; COMPUTE_PGM_RSRC2:TIDIG_COMP_CNT: 0
	.section	.text._ZN7rocprim17ROCPRIM_400000_NS6detail17trampoline_kernelINS0_14default_configENS1_20scan_config_selectorIjEEZZNS1_9scan_implILNS1_25lookback_scan_determinismE0ELb1ELb1ES3_PjS8_jN6hipcub16HIPCUB_304000_NS3SumEjEEDaPvRmT3_T4_T5_mT6_P12ihipStream_tbENKUlT_T0_E_clISt17integral_constantIbLb0EESP_EEDaSK_SL_EUlSK_E0_NS1_11comp_targetILNS1_3genE3ELNS1_11target_archE908ELNS1_3gpuE7ELNS1_3repE0EEENS1_30default_config_static_selectorELNS0_4arch9wavefront6targetE0EEEvT1_,"axG",@progbits,_ZN7rocprim17ROCPRIM_400000_NS6detail17trampoline_kernelINS0_14default_configENS1_20scan_config_selectorIjEEZZNS1_9scan_implILNS1_25lookback_scan_determinismE0ELb1ELb1ES3_PjS8_jN6hipcub16HIPCUB_304000_NS3SumEjEEDaPvRmT3_T4_T5_mT6_P12ihipStream_tbENKUlT_T0_E_clISt17integral_constantIbLb0EESP_EEDaSK_SL_EUlSK_E0_NS1_11comp_targetILNS1_3genE3ELNS1_11target_archE908ELNS1_3gpuE7ELNS1_3repE0EEENS1_30default_config_static_selectorELNS0_4arch9wavefront6targetE0EEEvT1_,comdat
	.protected	_ZN7rocprim17ROCPRIM_400000_NS6detail17trampoline_kernelINS0_14default_configENS1_20scan_config_selectorIjEEZZNS1_9scan_implILNS1_25lookback_scan_determinismE0ELb1ELb1ES3_PjS8_jN6hipcub16HIPCUB_304000_NS3SumEjEEDaPvRmT3_T4_T5_mT6_P12ihipStream_tbENKUlT_T0_E_clISt17integral_constantIbLb0EESP_EEDaSK_SL_EUlSK_E0_NS1_11comp_targetILNS1_3genE3ELNS1_11target_archE908ELNS1_3gpuE7ELNS1_3repE0EEENS1_30default_config_static_selectorELNS0_4arch9wavefront6targetE0EEEvT1_ ; -- Begin function _ZN7rocprim17ROCPRIM_400000_NS6detail17trampoline_kernelINS0_14default_configENS1_20scan_config_selectorIjEEZZNS1_9scan_implILNS1_25lookback_scan_determinismE0ELb1ELb1ES3_PjS8_jN6hipcub16HIPCUB_304000_NS3SumEjEEDaPvRmT3_T4_T5_mT6_P12ihipStream_tbENKUlT_T0_E_clISt17integral_constantIbLb0EESP_EEDaSK_SL_EUlSK_E0_NS1_11comp_targetILNS1_3genE3ELNS1_11target_archE908ELNS1_3gpuE7ELNS1_3repE0EEENS1_30default_config_static_selectorELNS0_4arch9wavefront6targetE0EEEvT1_
	.globl	_ZN7rocprim17ROCPRIM_400000_NS6detail17trampoline_kernelINS0_14default_configENS1_20scan_config_selectorIjEEZZNS1_9scan_implILNS1_25lookback_scan_determinismE0ELb1ELb1ES3_PjS8_jN6hipcub16HIPCUB_304000_NS3SumEjEEDaPvRmT3_T4_T5_mT6_P12ihipStream_tbENKUlT_T0_E_clISt17integral_constantIbLb0EESP_EEDaSK_SL_EUlSK_E0_NS1_11comp_targetILNS1_3genE3ELNS1_11target_archE908ELNS1_3gpuE7ELNS1_3repE0EEENS1_30default_config_static_selectorELNS0_4arch9wavefront6targetE0EEEvT1_
	.p2align	8
	.type	_ZN7rocprim17ROCPRIM_400000_NS6detail17trampoline_kernelINS0_14default_configENS1_20scan_config_selectorIjEEZZNS1_9scan_implILNS1_25lookback_scan_determinismE0ELb1ELb1ES3_PjS8_jN6hipcub16HIPCUB_304000_NS3SumEjEEDaPvRmT3_T4_T5_mT6_P12ihipStream_tbENKUlT_T0_E_clISt17integral_constantIbLb0EESP_EEDaSK_SL_EUlSK_E0_NS1_11comp_targetILNS1_3genE3ELNS1_11target_archE908ELNS1_3gpuE7ELNS1_3repE0EEENS1_30default_config_static_selectorELNS0_4arch9wavefront6targetE0EEEvT1_,@function
_ZN7rocprim17ROCPRIM_400000_NS6detail17trampoline_kernelINS0_14default_configENS1_20scan_config_selectorIjEEZZNS1_9scan_implILNS1_25lookback_scan_determinismE0ELb1ELb1ES3_PjS8_jN6hipcub16HIPCUB_304000_NS3SumEjEEDaPvRmT3_T4_T5_mT6_P12ihipStream_tbENKUlT_T0_E_clISt17integral_constantIbLb0EESP_EEDaSK_SL_EUlSK_E0_NS1_11comp_targetILNS1_3genE3ELNS1_11target_archE908ELNS1_3gpuE7ELNS1_3repE0EEENS1_30default_config_static_selectorELNS0_4arch9wavefront6targetE0EEEvT1_: ; @_ZN7rocprim17ROCPRIM_400000_NS6detail17trampoline_kernelINS0_14default_configENS1_20scan_config_selectorIjEEZZNS1_9scan_implILNS1_25lookback_scan_determinismE0ELb1ELb1ES3_PjS8_jN6hipcub16HIPCUB_304000_NS3SumEjEEDaPvRmT3_T4_T5_mT6_P12ihipStream_tbENKUlT_T0_E_clISt17integral_constantIbLb0EESP_EEDaSK_SL_EUlSK_E0_NS1_11comp_targetILNS1_3genE3ELNS1_11target_archE908ELNS1_3gpuE7ELNS1_3repE0EEENS1_30default_config_static_selectorELNS0_4arch9wavefront6targetE0EEEvT1_
; %bb.0:
	.section	.rodata,"a",@progbits
	.p2align	6, 0x0
	.amdhsa_kernel _ZN7rocprim17ROCPRIM_400000_NS6detail17trampoline_kernelINS0_14default_configENS1_20scan_config_selectorIjEEZZNS1_9scan_implILNS1_25lookback_scan_determinismE0ELb1ELb1ES3_PjS8_jN6hipcub16HIPCUB_304000_NS3SumEjEEDaPvRmT3_T4_T5_mT6_P12ihipStream_tbENKUlT_T0_E_clISt17integral_constantIbLb0EESP_EEDaSK_SL_EUlSK_E0_NS1_11comp_targetILNS1_3genE3ELNS1_11target_archE908ELNS1_3gpuE7ELNS1_3repE0EEENS1_30default_config_static_selectorELNS0_4arch9wavefront6targetE0EEEvT1_
		.amdhsa_group_segment_fixed_size 0
		.amdhsa_private_segment_fixed_size 0
		.amdhsa_kernarg_size 32
		.amdhsa_user_sgpr_count 2
		.amdhsa_user_sgpr_dispatch_ptr 0
		.amdhsa_user_sgpr_queue_ptr 0
		.amdhsa_user_sgpr_kernarg_segment_ptr 1
		.amdhsa_user_sgpr_dispatch_id 0
		.amdhsa_user_sgpr_kernarg_preload_length 0
		.amdhsa_user_sgpr_kernarg_preload_offset 0
		.amdhsa_user_sgpr_private_segment_size 0
		.amdhsa_wavefront_size32 1
		.amdhsa_uses_dynamic_stack 0
		.amdhsa_enable_private_segment 0
		.amdhsa_system_sgpr_workgroup_id_x 1
		.amdhsa_system_sgpr_workgroup_id_y 0
		.amdhsa_system_sgpr_workgroup_id_z 0
		.amdhsa_system_sgpr_workgroup_info 0
		.amdhsa_system_vgpr_workitem_id 0
		.amdhsa_next_free_vgpr 1
		.amdhsa_next_free_sgpr 1
		.amdhsa_named_barrier_count 0
		.amdhsa_reserve_vcc 0
		.amdhsa_float_round_mode_32 0
		.amdhsa_float_round_mode_16_64 0
		.amdhsa_float_denorm_mode_32 3
		.amdhsa_float_denorm_mode_16_64 3
		.amdhsa_fp16_overflow 0
		.amdhsa_memory_ordered 1
		.amdhsa_forward_progress 1
		.amdhsa_inst_pref_size 0
		.amdhsa_round_robin_scheduling 0
		.amdhsa_exception_fp_ieee_invalid_op 0
		.amdhsa_exception_fp_denorm_src 0
		.amdhsa_exception_fp_ieee_div_zero 0
		.amdhsa_exception_fp_ieee_overflow 0
		.amdhsa_exception_fp_ieee_underflow 0
		.amdhsa_exception_fp_ieee_inexact 0
		.amdhsa_exception_int_div_zero 0
	.end_amdhsa_kernel
	.section	.text._ZN7rocprim17ROCPRIM_400000_NS6detail17trampoline_kernelINS0_14default_configENS1_20scan_config_selectorIjEEZZNS1_9scan_implILNS1_25lookback_scan_determinismE0ELb1ELb1ES3_PjS8_jN6hipcub16HIPCUB_304000_NS3SumEjEEDaPvRmT3_T4_T5_mT6_P12ihipStream_tbENKUlT_T0_E_clISt17integral_constantIbLb0EESP_EEDaSK_SL_EUlSK_E0_NS1_11comp_targetILNS1_3genE3ELNS1_11target_archE908ELNS1_3gpuE7ELNS1_3repE0EEENS1_30default_config_static_selectorELNS0_4arch9wavefront6targetE0EEEvT1_,"axG",@progbits,_ZN7rocprim17ROCPRIM_400000_NS6detail17trampoline_kernelINS0_14default_configENS1_20scan_config_selectorIjEEZZNS1_9scan_implILNS1_25lookback_scan_determinismE0ELb1ELb1ES3_PjS8_jN6hipcub16HIPCUB_304000_NS3SumEjEEDaPvRmT3_T4_T5_mT6_P12ihipStream_tbENKUlT_T0_E_clISt17integral_constantIbLb0EESP_EEDaSK_SL_EUlSK_E0_NS1_11comp_targetILNS1_3genE3ELNS1_11target_archE908ELNS1_3gpuE7ELNS1_3repE0EEENS1_30default_config_static_selectorELNS0_4arch9wavefront6targetE0EEEvT1_,comdat
.Lfunc_end22:
	.size	_ZN7rocprim17ROCPRIM_400000_NS6detail17trampoline_kernelINS0_14default_configENS1_20scan_config_selectorIjEEZZNS1_9scan_implILNS1_25lookback_scan_determinismE0ELb1ELb1ES3_PjS8_jN6hipcub16HIPCUB_304000_NS3SumEjEEDaPvRmT3_T4_T5_mT6_P12ihipStream_tbENKUlT_T0_E_clISt17integral_constantIbLb0EESP_EEDaSK_SL_EUlSK_E0_NS1_11comp_targetILNS1_3genE3ELNS1_11target_archE908ELNS1_3gpuE7ELNS1_3repE0EEENS1_30default_config_static_selectorELNS0_4arch9wavefront6targetE0EEEvT1_, .Lfunc_end22-_ZN7rocprim17ROCPRIM_400000_NS6detail17trampoline_kernelINS0_14default_configENS1_20scan_config_selectorIjEEZZNS1_9scan_implILNS1_25lookback_scan_determinismE0ELb1ELb1ES3_PjS8_jN6hipcub16HIPCUB_304000_NS3SumEjEEDaPvRmT3_T4_T5_mT6_P12ihipStream_tbENKUlT_T0_E_clISt17integral_constantIbLb0EESP_EEDaSK_SL_EUlSK_E0_NS1_11comp_targetILNS1_3genE3ELNS1_11target_archE908ELNS1_3gpuE7ELNS1_3repE0EEENS1_30default_config_static_selectorELNS0_4arch9wavefront6targetE0EEEvT1_
                                        ; -- End function
	.set _ZN7rocprim17ROCPRIM_400000_NS6detail17trampoline_kernelINS0_14default_configENS1_20scan_config_selectorIjEEZZNS1_9scan_implILNS1_25lookback_scan_determinismE0ELb1ELb1ES3_PjS8_jN6hipcub16HIPCUB_304000_NS3SumEjEEDaPvRmT3_T4_T5_mT6_P12ihipStream_tbENKUlT_T0_E_clISt17integral_constantIbLb0EESP_EEDaSK_SL_EUlSK_E0_NS1_11comp_targetILNS1_3genE3ELNS1_11target_archE908ELNS1_3gpuE7ELNS1_3repE0EEENS1_30default_config_static_selectorELNS0_4arch9wavefront6targetE0EEEvT1_.num_vgpr, 0
	.set _ZN7rocprim17ROCPRIM_400000_NS6detail17trampoline_kernelINS0_14default_configENS1_20scan_config_selectorIjEEZZNS1_9scan_implILNS1_25lookback_scan_determinismE0ELb1ELb1ES3_PjS8_jN6hipcub16HIPCUB_304000_NS3SumEjEEDaPvRmT3_T4_T5_mT6_P12ihipStream_tbENKUlT_T0_E_clISt17integral_constantIbLb0EESP_EEDaSK_SL_EUlSK_E0_NS1_11comp_targetILNS1_3genE3ELNS1_11target_archE908ELNS1_3gpuE7ELNS1_3repE0EEENS1_30default_config_static_selectorELNS0_4arch9wavefront6targetE0EEEvT1_.num_agpr, 0
	.set _ZN7rocprim17ROCPRIM_400000_NS6detail17trampoline_kernelINS0_14default_configENS1_20scan_config_selectorIjEEZZNS1_9scan_implILNS1_25lookback_scan_determinismE0ELb1ELb1ES3_PjS8_jN6hipcub16HIPCUB_304000_NS3SumEjEEDaPvRmT3_T4_T5_mT6_P12ihipStream_tbENKUlT_T0_E_clISt17integral_constantIbLb0EESP_EEDaSK_SL_EUlSK_E0_NS1_11comp_targetILNS1_3genE3ELNS1_11target_archE908ELNS1_3gpuE7ELNS1_3repE0EEENS1_30default_config_static_selectorELNS0_4arch9wavefront6targetE0EEEvT1_.numbered_sgpr, 0
	.set _ZN7rocprim17ROCPRIM_400000_NS6detail17trampoline_kernelINS0_14default_configENS1_20scan_config_selectorIjEEZZNS1_9scan_implILNS1_25lookback_scan_determinismE0ELb1ELb1ES3_PjS8_jN6hipcub16HIPCUB_304000_NS3SumEjEEDaPvRmT3_T4_T5_mT6_P12ihipStream_tbENKUlT_T0_E_clISt17integral_constantIbLb0EESP_EEDaSK_SL_EUlSK_E0_NS1_11comp_targetILNS1_3genE3ELNS1_11target_archE908ELNS1_3gpuE7ELNS1_3repE0EEENS1_30default_config_static_selectorELNS0_4arch9wavefront6targetE0EEEvT1_.num_named_barrier, 0
	.set _ZN7rocprim17ROCPRIM_400000_NS6detail17trampoline_kernelINS0_14default_configENS1_20scan_config_selectorIjEEZZNS1_9scan_implILNS1_25lookback_scan_determinismE0ELb1ELb1ES3_PjS8_jN6hipcub16HIPCUB_304000_NS3SumEjEEDaPvRmT3_T4_T5_mT6_P12ihipStream_tbENKUlT_T0_E_clISt17integral_constantIbLb0EESP_EEDaSK_SL_EUlSK_E0_NS1_11comp_targetILNS1_3genE3ELNS1_11target_archE908ELNS1_3gpuE7ELNS1_3repE0EEENS1_30default_config_static_selectorELNS0_4arch9wavefront6targetE0EEEvT1_.private_seg_size, 0
	.set _ZN7rocprim17ROCPRIM_400000_NS6detail17trampoline_kernelINS0_14default_configENS1_20scan_config_selectorIjEEZZNS1_9scan_implILNS1_25lookback_scan_determinismE0ELb1ELb1ES3_PjS8_jN6hipcub16HIPCUB_304000_NS3SumEjEEDaPvRmT3_T4_T5_mT6_P12ihipStream_tbENKUlT_T0_E_clISt17integral_constantIbLb0EESP_EEDaSK_SL_EUlSK_E0_NS1_11comp_targetILNS1_3genE3ELNS1_11target_archE908ELNS1_3gpuE7ELNS1_3repE0EEENS1_30default_config_static_selectorELNS0_4arch9wavefront6targetE0EEEvT1_.uses_vcc, 0
	.set _ZN7rocprim17ROCPRIM_400000_NS6detail17trampoline_kernelINS0_14default_configENS1_20scan_config_selectorIjEEZZNS1_9scan_implILNS1_25lookback_scan_determinismE0ELb1ELb1ES3_PjS8_jN6hipcub16HIPCUB_304000_NS3SumEjEEDaPvRmT3_T4_T5_mT6_P12ihipStream_tbENKUlT_T0_E_clISt17integral_constantIbLb0EESP_EEDaSK_SL_EUlSK_E0_NS1_11comp_targetILNS1_3genE3ELNS1_11target_archE908ELNS1_3gpuE7ELNS1_3repE0EEENS1_30default_config_static_selectorELNS0_4arch9wavefront6targetE0EEEvT1_.uses_flat_scratch, 0
	.set _ZN7rocprim17ROCPRIM_400000_NS6detail17trampoline_kernelINS0_14default_configENS1_20scan_config_selectorIjEEZZNS1_9scan_implILNS1_25lookback_scan_determinismE0ELb1ELb1ES3_PjS8_jN6hipcub16HIPCUB_304000_NS3SumEjEEDaPvRmT3_T4_T5_mT6_P12ihipStream_tbENKUlT_T0_E_clISt17integral_constantIbLb0EESP_EEDaSK_SL_EUlSK_E0_NS1_11comp_targetILNS1_3genE3ELNS1_11target_archE908ELNS1_3gpuE7ELNS1_3repE0EEENS1_30default_config_static_selectorELNS0_4arch9wavefront6targetE0EEEvT1_.has_dyn_sized_stack, 0
	.set _ZN7rocprim17ROCPRIM_400000_NS6detail17trampoline_kernelINS0_14default_configENS1_20scan_config_selectorIjEEZZNS1_9scan_implILNS1_25lookback_scan_determinismE0ELb1ELb1ES3_PjS8_jN6hipcub16HIPCUB_304000_NS3SumEjEEDaPvRmT3_T4_T5_mT6_P12ihipStream_tbENKUlT_T0_E_clISt17integral_constantIbLb0EESP_EEDaSK_SL_EUlSK_E0_NS1_11comp_targetILNS1_3genE3ELNS1_11target_archE908ELNS1_3gpuE7ELNS1_3repE0EEENS1_30default_config_static_selectorELNS0_4arch9wavefront6targetE0EEEvT1_.has_recursion, 0
	.set _ZN7rocprim17ROCPRIM_400000_NS6detail17trampoline_kernelINS0_14default_configENS1_20scan_config_selectorIjEEZZNS1_9scan_implILNS1_25lookback_scan_determinismE0ELb1ELb1ES3_PjS8_jN6hipcub16HIPCUB_304000_NS3SumEjEEDaPvRmT3_T4_T5_mT6_P12ihipStream_tbENKUlT_T0_E_clISt17integral_constantIbLb0EESP_EEDaSK_SL_EUlSK_E0_NS1_11comp_targetILNS1_3genE3ELNS1_11target_archE908ELNS1_3gpuE7ELNS1_3repE0EEENS1_30default_config_static_selectorELNS0_4arch9wavefront6targetE0EEEvT1_.has_indirect_call, 0
	.section	.AMDGPU.csdata,"",@progbits
; Kernel info:
; codeLenInByte = 0
; TotalNumSgprs: 0
; NumVgprs: 0
; ScratchSize: 0
; MemoryBound: 0
; FloatMode: 240
; IeeeMode: 1
; LDSByteSize: 0 bytes/workgroup (compile time only)
; SGPRBlocks: 0
; VGPRBlocks: 0
; NumSGPRsForWavesPerEU: 1
; NumVGPRsForWavesPerEU: 1
; NamedBarCnt: 0
; Occupancy: 16
; WaveLimiterHint : 0
; COMPUTE_PGM_RSRC2:SCRATCH_EN: 0
; COMPUTE_PGM_RSRC2:USER_SGPR: 2
; COMPUTE_PGM_RSRC2:TRAP_HANDLER: 0
; COMPUTE_PGM_RSRC2:TGID_X_EN: 1
; COMPUTE_PGM_RSRC2:TGID_Y_EN: 0
; COMPUTE_PGM_RSRC2:TGID_Z_EN: 0
; COMPUTE_PGM_RSRC2:TIDIG_COMP_CNT: 0
	.section	.text._ZN7rocprim17ROCPRIM_400000_NS6detail17trampoline_kernelINS0_14default_configENS1_20scan_config_selectorIjEEZZNS1_9scan_implILNS1_25lookback_scan_determinismE0ELb1ELb1ES3_PjS8_jN6hipcub16HIPCUB_304000_NS3SumEjEEDaPvRmT3_T4_T5_mT6_P12ihipStream_tbENKUlT_T0_E_clISt17integral_constantIbLb0EESP_EEDaSK_SL_EUlSK_E0_NS1_11comp_targetILNS1_3genE2ELNS1_11target_archE906ELNS1_3gpuE6ELNS1_3repE0EEENS1_30default_config_static_selectorELNS0_4arch9wavefront6targetE0EEEvT1_,"axG",@progbits,_ZN7rocprim17ROCPRIM_400000_NS6detail17trampoline_kernelINS0_14default_configENS1_20scan_config_selectorIjEEZZNS1_9scan_implILNS1_25lookback_scan_determinismE0ELb1ELb1ES3_PjS8_jN6hipcub16HIPCUB_304000_NS3SumEjEEDaPvRmT3_T4_T5_mT6_P12ihipStream_tbENKUlT_T0_E_clISt17integral_constantIbLb0EESP_EEDaSK_SL_EUlSK_E0_NS1_11comp_targetILNS1_3genE2ELNS1_11target_archE906ELNS1_3gpuE6ELNS1_3repE0EEENS1_30default_config_static_selectorELNS0_4arch9wavefront6targetE0EEEvT1_,comdat
	.protected	_ZN7rocprim17ROCPRIM_400000_NS6detail17trampoline_kernelINS0_14default_configENS1_20scan_config_selectorIjEEZZNS1_9scan_implILNS1_25lookback_scan_determinismE0ELb1ELb1ES3_PjS8_jN6hipcub16HIPCUB_304000_NS3SumEjEEDaPvRmT3_T4_T5_mT6_P12ihipStream_tbENKUlT_T0_E_clISt17integral_constantIbLb0EESP_EEDaSK_SL_EUlSK_E0_NS1_11comp_targetILNS1_3genE2ELNS1_11target_archE906ELNS1_3gpuE6ELNS1_3repE0EEENS1_30default_config_static_selectorELNS0_4arch9wavefront6targetE0EEEvT1_ ; -- Begin function _ZN7rocprim17ROCPRIM_400000_NS6detail17trampoline_kernelINS0_14default_configENS1_20scan_config_selectorIjEEZZNS1_9scan_implILNS1_25lookback_scan_determinismE0ELb1ELb1ES3_PjS8_jN6hipcub16HIPCUB_304000_NS3SumEjEEDaPvRmT3_T4_T5_mT6_P12ihipStream_tbENKUlT_T0_E_clISt17integral_constantIbLb0EESP_EEDaSK_SL_EUlSK_E0_NS1_11comp_targetILNS1_3genE2ELNS1_11target_archE906ELNS1_3gpuE6ELNS1_3repE0EEENS1_30default_config_static_selectorELNS0_4arch9wavefront6targetE0EEEvT1_
	.globl	_ZN7rocprim17ROCPRIM_400000_NS6detail17trampoline_kernelINS0_14default_configENS1_20scan_config_selectorIjEEZZNS1_9scan_implILNS1_25lookback_scan_determinismE0ELb1ELb1ES3_PjS8_jN6hipcub16HIPCUB_304000_NS3SumEjEEDaPvRmT3_T4_T5_mT6_P12ihipStream_tbENKUlT_T0_E_clISt17integral_constantIbLb0EESP_EEDaSK_SL_EUlSK_E0_NS1_11comp_targetILNS1_3genE2ELNS1_11target_archE906ELNS1_3gpuE6ELNS1_3repE0EEENS1_30default_config_static_selectorELNS0_4arch9wavefront6targetE0EEEvT1_
	.p2align	8
	.type	_ZN7rocprim17ROCPRIM_400000_NS6detail17trampoline_kernelINS0_14default_configENS1_20scan_config_selectorIjEEZZNS1_9scan_implILNS1_25lookback_scan_determinismE0ELb1ELb1ES3_PjS8_jN6hipcub16HIPCUB_304000_NS3SumEjEEDaPvRmT3_T4_T5_mT6_P12ihipStream_tbENKUlT_T0_E_clISt17integral_constantIbLb0EESP_EEDaSK_SL_EUlSK_E0_NS1_11comp_targetILNS1_3genE2ELNS1_11target_archE906ELNS1_3gpuE6ELNS1_3repE0EEENS1_30default_config_static_selectorELNS0_4arch9wavefront6targetE0EEEvT1_,@function
_ZN7rocprim17ROCPRIM_400000_NS6detail17trampoline_kernelINS0_14default_configENS1_20scan_config_selectorIjEEZZNS1_9scan_implILNS1_25lookback_scan_determinismE0ELb1ELb1ES3_PjS8_jN6hipcub16HIPCUB_304000_NS3SumEjEEDaPvRmT3_T4_T5_mT6_P12ihipStream_tbENKUlT_T0_E_clISt17integral_constantIbLb0EESP_EEDaSK_SL_EUlSK_E0_NS1_11comp_targetILNS1_3genE2ELNS1_11target_archE906ELNS1_3gpuE6ELNS1_3repE0EEENS1_30default_config_static_selectorELNS0_4arch9wavefront6targetE0EEEvT1_: ; @_ZN7rocprim17ROCPRIM_400000_NS6detail17trampoline_kernelINS0_14default_configENS1_20scan_config_selectorIjEEZZNS1_9scan_implILNS1_25lookback_scan_determinismE0ELb1ELb1ES3_PjS8_jN6hipcub16HIPCUB_304000_NS3SumEjEEDaPvRmT3_T4_T5_mT6_P12ihipStream_tbENKUlT_T0_E_clISt17integral_constantIbLb0EESP_EEDaSK_SL_EUlSK_E0_NS1_11comp_targetILNS1_3genE2ELNS1_11target_archE906ELNS1_3gpuE6ELNS1_3repE0EEENS1_30default_config_static_selectorELNS0_4arch9wavefront6targetE0EEEvT1_
; %bb.0:
	.section	.rodata,"a",@progbits
	.p2align	6, 0x0
	.amdhsa_kernel _ZN7rocprim17ROCPRIM_400000_NS6detail17trampoline_kernelINS0_14default_configENS1_20scan_config_selectorIjEEZZNS1_9scan_implILNS1_25lookback_scan_determinismE0ELb1ELb1ES3_PjS8_jN6hipcub16HIPCUB_304000_NS3SumEjEEDaPvRmT3_T4_T5_mT6_P12ihipStream_tbENKUlT_T0_E_clISt17integral_constantIbLb0EESP_EEDaSK_SL_EUlSK_E0_NS1_11comp_targetILNS1_3genE2ELNS1_11target_archE906ELNS1_3gpuE6ELNS1_3repE0EEENS1_30default_config_static_selectorELNS0_4arch9wavefront6targetE0EEEvT1_
		.amdhsa_group_segment_fixed_size 0
		.amdhsa_private_segment_fixed_size 0
		.amdhsa_kernarg_size 32
		.amdhsa_user_sgpr_count 2
		.amdhsa_user_sgpr_dispatch_ptr 0
		.amdhsa_user_sgpr_queue_ptr 0
		.amdhsa_user_sgpr_kernarg_segment_ptr 1
		.amdhsa_user_sgpr_dispatch_id 0
		.amdhsa_user_sgpr_kernarg_preload_length 0
		.amdhsa_user_sgpr_kernarg_preload_offset 0
		.amdhsa_user_sgpr_private_segment_size 0
		.amdhsa_wavefront_size32 1
		.amdhsa_uses_dynamic_stack 0
		.amdhsa_enable_private_segment 0
		.amdhsa_system_sgpr_workgroup_id_x 1
		.amdhsa_system_sgpr_workgroup_id_y 0
		.amdhsa_system_sgpr_workgroup_id_z 0
		.amdhsa_system_sgpr_workgroup_info 0
		.amdhsa_system_vgpr_workitem_id 0
		.amdhsa_next_free_vgpr 1
		.amdhsa_next_free_sgpr 1
		.amdhsa_named_barrier_count 0
		.amdhsa_reserve_vcc 0
		.amdhsa_float_round_mode_32 0
		.amdhsa_float_round_mode_16_64 0
		.amdhsa_float_denorm_mode_32 3
		.amdhsa_float_denorm_mode_16_64 3
		.amdhsa_fp16_overflow 0
		.amdhsa_memory_ordered 1
		.amdhsa_forward_progress 1
		.amdhsa_inst_pref_size 0
		.amdhsa_round_robin_scheduling 0
		.amdhsa_exception_fp_ieee_invalid_op 0
		.amdhsa_exception_fp_denorm_src 0
		.amdhsa_exception_fp_ieee_div_zero 0
		.amdhsa_exception_fp_ieee_overflow 0
		.amdhsa_exception_fp_ieee_underflow 0
		.amdhsa_exception_fp_ieee_inexact 0
		.amdhsa_exception_int_div_zero 0
	.end_amdhsa_kernel
	.section	.text._ZN7rocprim17ROCPRIM_400000_NS6detail17trampoline_kernelINS0_14default_configENS1_20scan_config_selectorIjEEZZNS1_9scan_implILNS1_25lookback_scan_determinismE0ELb1ELb1ES3_PjS8_jN6hipcub16HIPCUB_304000_NS3SumEjEEDaPvRmT3_T4_T5_mT6_P12ihipStream_tbENKUlT_T0_E_clISt17integral_constantIbLb0EESP_EEDaSK_SL_EUlSK_E0_NS1_11comp_targetILNS1_3genE2ELNS1_11target_archE906ELNS1_3gpuE6ELNS1_3repE0EEENS1_30default_config_static_selectorELNS0_4arch9wavefront6targetE0EEEvT1_,"axG",@progbits,_ZN7rocprim17ROCPRIM_400000_NS6detail17trampoline_kernelINS0_14default_configENS1_20scan_config_selectorIjEEZZNS1_9scan_implILNS1_25lookback_scan_determinismE0ELb1ELb1ES3_PjS8_jN6hipcub16HIPCUB_304000_NS3SumEjEEDaPvRmT3_T4_T5_mT6_P12ihipStream_tbENKUlT_T0_E_clISt17integral_constantIbLb0EESP_EEDaSK_SL_EUlSK_E0_NS1_11comp_targetILNS1_3genE2ELNS1_11target_archE906ELNS1_3gpuE6ELNS1_3repE0EEENS1_30default_config_static_selectorELNS0_4arch9wavefront6targetE0EEEvT1_,comdat
.Lfunc_end23:
	.size	_ZN7rocprim17ROCPRIM_400000_NS6detail17trampoline_kernelINS0_14default_configENS1_20scan_config_selectorIjEEZZNS1_9scan_implILNS1_25lookback_scan_determinismE0ELb1ELb1ES3_PjS8_jN6hipcub16HIPCUB_304000_NS3SumEjEEDaPvRmT3_T4_T5_mT6_P12ihipStream_tbENKUlT_T0_E_clISt17integral_constantIbLb0EESP_EEDaSK_SL_EUlSK_E0_NS1_11comp_targetILNS1_3genE2ELNS1_11target_archE906ELNS1_3gpuE6ELNS1_3repE0EEENS1_30default_config_static_selectorELNS0_4arch9wavefront6targetE0EEEvT1_, .Lfunc_end23-_ZN7rocprim17ROCPRIM_400000_NS6detail17trampoline_kernelINS0_14default_configENS1_20scan_config_selectorIjEEZZNS1_9scan_implILNS1_25lookback_scan_determinismE0ELb1ELb1ES3_PjS8_jN6hipcub16HIPCUB_304000_NS3SumEjEEDaPvRmT3_T4_T5_mT6_P12ihipStream_tbENKUlT_T0_E_clISt17integral_constantIbLb0EESP_EEDaSK_SL_EUlSK_E0_NS1_11comp_targetILNS1_3genE2ELNS1_11target_archE906ELNS1_3gpuE6ELNS1_3repE0EEENS1_30default_config_static_selectorELNS0_4arch9wavefront6targetE0EEEvT1_
                                        ; -- End function
	.set _ZN7rocprim17ROCPRIM_400000_NS6detail17trampoline_kernelINS0_14default_configENS1_20scan_config_selectorIjEEZZNS1_9scan_implILNS1_25lookback_scan_determinismE0ELb1ELb1ES3_PjS8_jN6hipcub16HIPCUB_304000_NS3SumEjEEDaPvRmT3_T4_T5_mT6_P12ihipStream_tbENKUlT_T0_E_clISt17integral_constantIbLb0EESP_EEDaSK_SL_EUlSK_E0_NS1_11comp_targetILNS1_3genE2ELNS1_11target_archE906ELNS1_3gpuE6ELNS1_3repE0EEENS1_30default_config_static_selectorELNS0_4arch9wavefront6targetE0EEEvT1_.num_vgpr, 0
	.set _ZN7rocprim17ROCPRIM_400000_NS6detail17trampoline_kernelINS0_14default_configENS1_20scan_config_selectorIjEEZZNS1_9scan_implILNS1_25lookback_scan_determinismE0ELb1ELb1ES3_PjS8_jN6hipcub16HIPCUB_304000_NS3SumEjEEDaPvRmT3_T4_T5_mT6_P12ihipStream_tbENKUlT_T0_E_clISt17integral_constantIbLb0EESP_EEDaSK_SL_EUlSK_E0_NS1_11comp_targetILNS1_3genE2ELNS1_11target_archE906ELNS1_3gpuE6ELNS1_3repE0EEENS1_30default_config_static_selectorELNS0_4arch9wavefront6targetE0EEEvT1_.num_agpr, 0
	.set _ZN7rocprim17ROCPRIM_400000_NS6detail17trampoline_kernelINS0_14default_configENS1_20scan_config_selectorIjEEZZNS1_9scan_implILNS1_25lookback_scan_determinismE0ELb1ELb1ES3_PjS8_jN6hipcub16HIPCUB_304000_NS3SumEjEEDaPvRmT3_T4_T5_mT6_P12ihipStream_tbENKUlT_T0_E_clISt17integral_constantIbLb0EESP_EEDaSK_SL_EUlSK_E0_NS1_11comp_targetILNS1_3genE2ELNS1_11target_archE906ELNS1_3gpuE6ELNS1_3repE0EEENS1_30default_config_static_selectorELNS0_4arch9wavefront6targetE0EEEvT1_.numbered_sgpr, 0
	.set _ZN7rocprim17ROCPRIM_400000_NS6detail17trampoline_kernelINS0_14default_configENS1_20scan_config_selectorIjEEZZNS1_9scan_implILNS1_25lookback_scan_determinismE0ELb1ELb1ES3_PjS8_jN6hipcub16HIPCUB_304000_NS3SumEjEEDaPvRmT3_T4_T5_mT6_P12ihipStream_tbENKUlT_T0_E_clISt17integral_constantIbLb0EESP_EEDaSK_SL_EUlSK_E0_NS1_11comp_targetILNS1_3genE2ELNS1_11target_archE906ELNS1_3gpuE6ELNS1_3repE0EEENS1_30default_config_static_selectorELNS0_4arch9wavefront6targetE0EEEvT1_.num_named_barrier, 0
	.set _ZN7rocprim17ROCPRIM_400000_NS6detail17trampoline_kernelINS0_14default_configENS1_20scan_config_selectorIjEEZZNS1_9scan_implILNS1_25lookback_scan_determinismE0ELb1ELb1ES3_PjS8_jN6hipcub16HIPCUB_304000_NS3SumEjEEDaPvRmT3_T4_T5_mT6_P12ihipStream_tbENKUlT_T0_E_clISt17integral_constantIbLb0EESP_EEDaSK_SL_EUlSK_E0_NS1_11comp_targetILNS1_3genE2ELNS1_11target_archE906ELNS1_3gpuE6ELNS1_3repE0EEENS1_30default_config_static_selectorELNS0_4arch9wavefront6targetE0EEEvT1_.private_seg_size, 0
	.set _ZN7rocprim17ROCPRIM_400000_NS6detail17trampoline_kernelINS0_14default_configENS1_20scan_config_selectorIjEEZZNS1_9scan_implILNS1_25lookback_scan_determinismE0ELb1ELb1ES3_PjS8_jN6hipcub16HIPCUB_304000_NS3SumEjEEDaPvRmT3_T4_T5_mT6_P12ihipStream_tbENKUlT_T0_E_clISt17integral_constantIbLb0EESP_EEDaSK_SL_EUlSK_E0_NS1_11comp_targetILNS1_3genE2ELNS1_11target_archE906ELNS1_3gpuE6ELNS1_3repE0EEENS1_30default_config_static_selectorELNS0_4arch9wavefront6targetE0EEEvT1_.uses_vcc, 0
	.set _ZN7rocprim17ROCPRIM_400000_NS6detail17trampoline_kernelINS0_14default_configENS1_20scan_config_selectorIjEEZZNS1_9scan_implILNS1_25lookback_scan_determinismE0ELb1ELb1ES3_PjS8_jN6hipcub16HIPCUB_304000_NS3SumEjEEDaPvRmT3_T4_T5_mT6_P12ihipStream_tbENKUlT_T0_E_clISt17integral_constantIbLb0EESP_EEDaSK_SL_EUlSK_E0_NS1_11comp_targetILNS1_3genE2ELNS1_11target_archE906ELNS1_3gpuE6ELNS1_3repE0EEENS1_30default_config_static_selectorELNS0_4arch9wavefront6targetE0EEEvT1_.uses_flat_scratch, 0
	.set _ZN7rocprim17ROCPRIM_400000_NS6detail17trampoline_kernelINS0_14default_configENS1_20scan_config_selectorIjEEZZNS1_9scan_implILNS1_25lookback_scan_determinismE0ELb1ELb1ES3_PjS8_jN6hipcub16HIPCUB_304000_NS3SumEjEEDaPvRmT3_T4_T5_mT6_P12ihipStream_tbENKUlT_T0_E_clISt17integral_constantIbLb0EESP_EEDaSK_SL_EUlSK_E0_NS1_11comp_targetILNS1_3genE2ELNS1_11target_archE906ELNS1_3gpuE6ELNS1_3repE0EEENS1_30default_config_static_selectorELNS0_4arch9wavefront6targetE0EEEvT1_.has_dyn_sized_stack, 0
	.set _ZN7rocprim17ROCPRIM_400000_NS6detail17trampoline_kernelINS0_14default_configENS1_20scan_config_selectorIjEEZZNS1_9scan_implILNS1_25lookback_scan_determinismE0ELb1ELb1ES3_PjS8_jN6hipcub16HIPCUB_304000_NS3SumEjEEDaPvRmT3_T4_T5_mT6_P12ihipStream_tbENKUlT_T0_E_clISt17integral_constantIbLb0EESP_EEDaSK_SL_EUlSK_E0_NS1_11comp_targetILNS1_3genE2ELNS1_11target_archE906ELNS1_3gpuE6ELNS1_3repE0EEENS1_30default_config_static_selectorELNS0_4arch9wavefront6targetE0EEEvT1_.has_recursion, 0
	.set _ZN7rocprim17ROCPRIM_400000_NS6detail17trampoline_kernelINS0_14default_configENS1_20scan_config_selectorIjEEZZNS1_9scan_implILNS1_25lookback_scan_determinismE0ELb1ELb1ES3_PjS8_jN6hipcub16HIPCUB_304000_NS3SumEjEEDaPvRmT3_T4_T5_mT6_P12ihipStream_tbENKUlT_T0_E_clISt17integral_constantIbLb0EESP_EEDaSK_SL_EUlSK_E0_NS1_11comp_targetILNS1_3genE2ELNS1_11target_archE906ELNS1_3gpuE6ELNS1_3repE0EEENS1_30default_config_static_selectorELNS0_4arch9wavefront6targetE0EEEvT1_.has_indirect_call, 0
	.section	.AMDGPU.csdata,"",@progbits
; Kernel info:
; codeLenInByte = 0
; TotalNumSgprs: 0
; NumVgprs: 0
; ScratchSize: 0
; MemoryBound: 0
; FloatMode: 240
; IeeeMode: 1
; LDSByteSize: 0 bytes/workgroup (compile time only)
; SGPRBlocks: 0
; VGPRBlocks: 0
; NumSGPRsForWavesPerEU: 1
; NumVGPRsForWavesPerEU: 1
; NamedBarCnt: 0
; Occupancy: 16
; WaveLimiterHint : 0
; COMPUTE_PGM_RSRC2:SCRATCH_EN: 0
; COMPUTE_PGM_RSRC2:USER_SGPR: 2
; COMPUTE_PGM_RSRC2:TRAP_HANDLER: 0
; COMPUTE_PGM_RSRC2:TGID_X_EN: 1
; COMPUTE_PGM_RSRC2:TGID_Y_EN: 0
; COMPUTE_PGM_RSRC2:TGID_Z_EN: 0
; COMPUTE_PGM_RSRC2:TIDIG_COMP_CNT: 0
	.section	.text._ZN7rocprim17ROCPRIM_400000_NS6detail17trampoline_kernelINS0_14default_configENS1_20scan_config_selectorIjEEZZNS1_9scan_implILNS1_25lookback_scan_determinismE0ELb1ELb1ES3_PjS8_jN6hipcub16HIPCUB_304000_NS3SumEjEEDaPvRmT3_T4_T5_mT6_P12ihipStream_tbENKUlT_T0_E_clISt17integral_constantIbLb0EESP_EEDaSK_SL_EUlSK_E0_NS1_11comp_targetILNS1_3genE10ELNS1_11target_archE1201ELNS1_3gpuE5ELNS1_3repE0EEENS1_30default_config_static_selectorELNS0_4arch9wavefront6targetE0EEEvT1_,"axG",@progbits,_ZN7rocprim17ROCPRIM_400000_NS6detail17trampoline_kernelINS0_14default_configENS1_20scan_config_selectorIjEEZZNS1_9scan_implILNS1_25lookback_scan_determinismE0ELb1ELb1ES3_PjS8_jN6hipcub16HIPCUB_304000_NS3SumEjEEDaPvRmT3_T4_T5_mT6_P12ihipStream_tbENKUlT_T0_E_clISt17integral_constantIbLb0EESP_EEDaSK_SL_EUlSK_E0_NS1_11comp_targetILNS1_3genE10ELNS1_11target_archE1201ELNS1_3gpuE5ELNS1_3repE0EEENS1_30default_config_static_selectorELNS0_4arch9wavefront6targetE0EEEvT1_,comdat
	.protected	_ZN7rocprim17ROCPRIM_400000_NS6detail17trampoline_kernelINS0_14default_configENS1_20scan_config_selectorIjEEZZNS1_9scan_implILNS1_25lookback_scan_determinismE0ELb1ELb1ES3_PjS8_jN6hipcub16HIPCUB_304000_NS3SumEjEEDaPvRmT3_T4_T5_mT6_P12ihipStream_tbENKUlT_T0_E_clISt17integral_constantIbLb0EESP_EEDaSK_SL_EUlSK_E0_NS1_11comp_targetILNS1_3genE10ELNS1_11target_archE1201ELNS1_3gpuE5ELNS1_3repE0EEENS1_30default_config_static_selectorELNS0_4arch9wavefront6targetE0EEEvT1_ ; -- Begin function _ZN7rocprim17ROCPRIM_400000_NS6detail17trampoline_kernelINS0_14default_configENS1_20scan_config_selectorIjEEZZNS1_9scan_implILNS1_25lookback_scan_determinismE0ELb1ELb1ES3_PjS8_jN6hipcub16HIPCUB_304000_NS3SumEjEEDaPvRmT3_T4_T5_mT6_P12ihipStream_tbENKUlT_T0_E_clISt17integral_constantIbLb0EESP_EEDaSK_SL_EUlSK_E0_NS1_11comp_targetILNS1_3genE10ELNS1_11target_archE1201ELNS1_3gpuE5ELNS1_3repE0EEENS1_30default_config_static_selectorELNS0_4arch9wavefront6targetE0EEEvT1_
	.globl	_ZN7rocprim17ROCPRIM_400000_NS6detail17trampoline_kernelINS0_14default_configENS1_20scan_config_selectorIjEEZZNS1_9scan_implILNS1_25lookback_scan_determinismE0ELb1ELb1ES3_PjS8_jN6hipcub16HIPCUB_304000_NS3SumEjEEDaPvRmT3_T4_T5_mT6_P12ihipStream_tbENKUlT_T0_E_clISt17integral_constantIbLb0EESP_EEDaSK_SL_EUlSK_E0_NS1_11comp_targetILNS1_3genE10ELNS1_11target_archE1201ELNS1_3gpuE5ELNS1_3repE0EEENS1_30default_config_static_selectorELNS0_4arch9wavefront6targetE0EEEvT1_
	.p2align	8
	.type	_ZN7rocprim17ROCPRIM_400000_NS6detail17trampoline_kernelINS0_14default_configENS1_20scan_config_selectorIjEEZZNS1_9scan_implILNS1_25lookback_scan_determinismE0ELb1ELb1ES3_PjS8_jN6hipcub16HIPCUB_304000_NS3SumEjEEDaPvRmT3_T4_T5_mT6_P12ihipStream_tbENKUlT_T0_E_clISt17integral_constantIbLb0EESP_EEDaSK_SL_EUlSK_E0_NS1_11comp_targetILNS1_3genE10ELNS1_11target_archE1201ELNS1_3gpuE5ELNS1_3repE0EEENS1_30default_config_static_selectorELNS0_4arch9wavefront6targetE0EEEvT1_,@function
_ZN7rocprim17ROCPRIM_400000_NS6detail17trampoline_kernelINS0_14default_configENS1_20scan_config_selectorIjEEZZNS1_9scan_implILNS1_25lookback_scan_determinismE0ELb1ELb1ES3_PjS8_jN6hipcub16HIPCUB_304000_NS3SumEjEEDaPvRmT3_T4_T5_mT6_P12ihipStream_tbENKUlT_T0_E_clISt17integral_constantIbLb0EESP_EEDaSK_SL_EUlSK_E0_NS1_11comp_targetILNS1_3genE10ELNS1_11target_archE1201ELNS1_3gpuE5ELNS1_3repE0EEENS1_30default_config_static_selectorELNS0_4arch9wavefront6targetE0EEEvT1_: ; @_ZN7rocprim17ROCPRIM_400000_NS6detail17trampoline_kernelINS0_14default_configENS1_20scan_config_selectorIjEEZZNS1_9scan_implILNS1_25lookback_scan_determinismE0ELb1ELb1ES3_PjS8_jN6hipcub16HIPCUB_304000_NS3SumEjEEDaPvRmT3_T4_T5_mT6_P12ihipStream_tbENKUlT_T0_E_clISt17integral_constantIbLb0EESP_EEDaSK_SL_EUlSK_E0_NS1_11comp_targetILNS1_3genE10ELNS1_11target_archE1201ELNS1_3gpuE5ELNS1_3repE0EEENS1_30default_config_static_selectorELNS0_4arch9wavefront6targetE0EEEvT1_
; %bb.0:
	.section	.rodata,"a",@progbits
	.p2align	6, 0x0
	.amdhsa_kernel _ZN7rocprim17ROCPRIM_400000_NS6detail17trampoline_kernelINS0_14default_configENS1_20scan_config_selectorIjEEZZNS1_9scan_implILNS1_25lookback_scan_determinismE0ELb1ELb1ES3_PjS8_jN6hipcub16HIPCUB_304000_NS3SumEjEEDaPvRmT3_T4_T5_mT6_P12ihipStream_tbENKUlT_T0_E_clISt17integral_constantIbLb0EESP_EEDaSK_SL_EUlSK_E0_NS1_11comp_targetILNS1_3genE10ELNS1_11target_archE1201ELNS1_3gpuE5ELNS1_3repE0EEENS1_30default_config_static_selectorELNS0_4arch9wavefront6targetE0EEEvT1_
		.amdhsa_group_segment_fixed_size 0
		.amdhsa_private_segment_fixed_size 0
		.amdhsa_kernarg_size 32
		.amdhsa_user_sgpr_count 2
		.amdhsa_user_sgpr_dispatch_ptr 0
		.amdhsa_user_sgpr_queue_ptr 0
		.amdhsa_user_sgpr_kernarg_segment_ptr 1
		.amdhsa_user_sgpr_dispatch_id 0
		.amdhsa_user_sgpr_kernarg_preload_length 0
		.amdhsa_user_sgpr_kernarg_preload_offset 0
		.amdhsa_user_sgpr_private_segment_size 0
		.amdhsa_wavefront_size32 1
		.amdhsa_uses_dynamic_stack 0
		.amdhsa_enable_private_segment 0
		.amdhsa_system_sgpr_workgroup_id_x 1
		.amdhsa_system_sgpr_workgroup_id_y 0
		.amdhsa_system_sgpr_workgroup_id_z 0
		.amdhsa_system_sgpr_workgroup_info 0
		.amdhsa_system_vgpr_workitem_id 0
		.amdhsa_next_free_vgpr 1
		.amdhsa_next_free_sgpr 1
		.amdhsa_named_barrier_count 0
		.amdhsa_reserve_vcc 0
		.amdhsa_float_round_mode_32 0
		.amdhsa_float_round_mode_16_64 0
		.amdhsa_float_denorm_mode_32 3
		.amdhsa_float_denorm_mode_16_64 3
		.amdhsa_fp16_overflow 0
		.amdhsa_memory_ordered 1
		.amdhsa_forward_progress 1
		.amdhsa_inst_pref_size 0
		.amdhsa_round_robin_scheduling 0
		.amdhsa_exception_fp_ieee_invalid_op 0
		.amdhsa_exception_fp_denorm_src 0
		.amdhsa_exception_fp_ieee_div_zero 0
		.amdhsa_exception_fp_ieee_overflow 0
		.amdhsa_exception_fp_ieee_underflow 0
		.amdhsa_exception_fp_ieee_inexact 0
		.amdhsa_exception_int_div_zero 0
	.end_amdhsa_kernel
	.section	.text._ZN7rocprim17ROCPRIM_400000_NS6detail17trampoline_kernelINS0_14default_configENS1_20scan_config_selectorIjEEZZNS1_9scan_implILNS1_25lookback_scan_determinismE0ELb1ELb1ES3_PjS8_jN6hipcub16HIPCUB_304000_NS3SumEjEEDaPvRmT3_T4_T5_mT6_P12ihipStream_tbENKUlT_T0_E_clISt17integral_constantIbLb0EESP_EEDaSK_SL_EUlSK_E0_NS1_11comp_targetILNS1_3genE10ELNS1_11target_archE1201ELNS1_3gpuE5ELNS1_3repE0EEENS1_30default_config_static_selectorELNS0_4arch9wavefront6targetE0EEEvT1_,"axG",@progbits,_ZN7rocprim17ROCPRIM_400000_NS6detail17trampoline_kernelINS0_14default_configENS1_20scan_config_selectorIjEEZZNS1_9scan_implILNS1_25lookback_scan_determinismE0ELb1ELb1ES3_PjS8_jN6hipcub16HIPCUB_304000_NS3SumEjEEDaPvRmT3_T4_T5_mT6_P12ihipStream_tbENKUlT_T0_E_clISt17integral_constantIbLb0EESP_EEDaSK_SL_EUlSK_E0_NS1_11comp_targetILNS1_3genE10ELNS1_11target_archE1201ELNS1_3gpuE5ELNS1_3repE0EEENS1_30default_config_static_selectorELNS0_4arch9wavefront6targetE0EEEvT1_,comdat
.Lfunc_end24:
	.size	_ZN7rocprim17ROCPRIM_400000_NS6detail17trampoline_kernelINS0_14default_configENS1_20scan_config_selectorIjEEZZNS1_9scan_implILNS1_25lookback_scan_determinismE0ELb1ELb1ES3_PjS8_jN6hipcub16HIPCUB_304000_NS3SumEjEEDaPvRmT3_T4_T5_mT6_P12ihipStream_tbENKUlT_T0_E_clISt17integral_constantIbLb0EESP_EEDaSK_SL_EUlSK_E0_NS1_11comp_targetILNS1_3genE10ELNS1_11target_archE1201ELNS1_3gpuE5ELNS1_3repE0EEENS1_30default_config_static_selectorELNS0_4arch9wavefront6targetE0EEEvT1_, .Lfunc_end24-_ZN7rocprim17ROCPRIM_400000_NS6detail17trampoline_kernelINS0_14default_configENS1_20scan_config_selectorIjEEZZNS1_9scan_implILNS1_25lookback_scan_determinismE0ELb1ELb1ES3_PjS8_jN6hipcub16HIPCUB_304000_NS3SumEjEEDaPvRmT3_T4_T5_mT6_P12ihipStream_tbENKUlT_T0_E_clISt17integral_constantIbLb0EESP_EEDaSK_SL_EUlSK_E0_NS1_11comp_targetILNS1_3genE10ELNS1_11target_archE1201ELNS1_3gpuE5ELNS1_3repE0EEENS1_30default_config_static_selectorELNS0_4arch9wavefront6targetE0EEEvT1_
                                        ; -- End function
	.set _ZN7rocprim17ROCPRIM_400000_NS6detail17trampoline_kernelINS0_14default_configENS1_20scan_config_selectorIjEEZZNS1_9scan_implILNS1_25lookback_scan_determinismE0ELb1ELb1ES3_PjS8_jN6hipcub16HIPCUB_304000_NS3SumEjEEDaPvRmT3_T4_T5_mT6_P12ihipStream_tbENKUlT_T0_E_clISt17integral_constantIbLb0EESP_EEDaSK_SL_EUlSK_E0_NS1_11comp_targetILNS1_3genE10ELNS1_11target_archE1201ELNS1_3gpuE5ELNS1_3repE0EEENS1_30default_config_static_selectorELNS0_4arch9wavefront6targetE0EEEvT1_.num_vgpr, 0
	.set _ZN7rocprim17ROCPRIM_400000_NS6detail17trampoline_kernelINS0_14default_configENS1_20scan_config_selectorIjEEZZNS1_9scan_implILNS1_25lookback_scan_determinismE0ELb1ELb1ES3_PjS8_jN6hipcub16HIPCUB_304000_NS3SumEjEEDaPvRmT3_T4_T5_mT6_P12ihipStream_tbENKUlT_T0_E_clISt17integral_constantIbLb0EESP_EEDaSK_SL_EUlSK_E0_NS1_11comp_targetILNS1_3genE10ELNS1_11target_archE1201ELNS1_3gpuE5ELNS1_3repE0EEENS1_30default_config_static_selectorELNS0_4arch9wavefront6targetE0EEEvT1_.num_agpr, 0
	.set _ZN7rocprim17ROCPRIM_400000_NS6detail17trampoline_kernelINS0_14default_configENS1_20scan_config_selectorIjEEZZNS1_9scan_implILNS1_25lookback_scan_determinismE0ELb1ELb1ES3_PjS8_jN6hipcub16HIPCUB_304000_NS3SumEjEEDaPvRmT3_T4_T5_mT6_P12ihipStream_tbENKUlT_T0_E_clISt17integral_constantIbLb0EESP_EEDaSK_SL_EUlSK_E0_NS1_11comp_targetILNS1_3genE10ELNS1_11target_archE1201ELNS1_3gpuE5ELNS1_3repE0EEENS1_30default_config_static_selectorELNS0_4arch9wavefront6targetE0EEEvT1_.numbered_sgpr, 0
	.set _ZN7rocprim17ROCPRIM_400000_NS6detail17trampoline_kernelINS0_14default_configENS1_20scan_config_selectorIjEEZZNS1_9scan_implILNS1_25lookback_scan_determinismE0ELb1ELb1ES3_PjS8_jN6hipcub16HIPCUB_304000_NS3SumEjEEDaPvRmT3_T4_T5_mT6_P12ihipStream_tbENKUlT_T0_E_clISt17integral_constantIbLb0EESP_EEDaSK_SL_EUlSK_E0_NS1_11comp_targetILNS1_3genE10ELNS1_11target_archE1201ELNS1_3gpuE5ELNS1_3repE0EEENS1_30default_config_static_selectorELNS0_4arch9wavefront6targetE0EEEvT1_.num_named_barrier, 0
	.set _ZN7rocprim17ROCPRIM_400000_NS6detail17trampoline_kernelINS0_14default_configENS1_20scan_config_selectorIjEEZZNS1_9scan_implILNS1_25lookback_scan_determinismE0ELb1ELb1ES3_PjS8_jN6hipcub16HIPCUB_304000_NS3SumEjEEDaPvRmT3_T4_T5_mT6_P12ihipStream_tbENKUlT_T0_E_clISt17integral_constantIbLb0EESP_EEDaSK_SL_EUlSK_E0_NS1_11comp_targetILNS1_3genE10ELNS1_11target_archE1201ELNS1_3gpuE5ELNS1_3repE0EEENS1_30default_config_static_selectorELNS0_4arch9wavefront6targetE0EEEvT1_.private_seg_size, 0
	.set _ZN7rocprim17ROCPRIM_400000_NS6detail17trampoline_kernelINS0_14default_configENS1_20scan_config_selectorIjEEZZNS1_9scan_implILNS1_25lookback_scan_determinismE0ELb1ELb1ES3_PjS8_jN6hipcub16HIPCUB_304000_NS3SumEjEEDaPvRmT3_T4_T5_mT6_P12ihipStream_tbENKUlT_T0_E_clISt17integral_constantIbLb0EESP_EEDaSK_SL_EUlSK_E0_NS1_11comp_targetILNS1_3genE10ELNS1_11target_archE1201ELNS1_3gpuE5ELNS1_3repE0EEENS1_30default_config_static_selectorELNS0_4arch9wavefront6targetE0EEEvT1_.uses_vcc, 0
	.set _ZN7rocprim17ROCPRIM_400000_NS6detail17trampoline_kernelINS0_14default_configENS1_20scan_config_selectorIjEEZZNS1_9scan_implILNS1_25lookback_scan_determinismE0ELb1ELb1ES3_PjS8_jN6hipcub16HIPCUB_304000_NS3SumEjEEDaPvRmT3_T4_T5_mT6_P12ihipStream_tbENKUlT_T0_E_clISt17integral_constantIbLb0EESP_EEDaSK_SL_EUlSK_E0_NS1_11comp_targetILNS1_3genE10ELNS1_11target_archE1201ELNS1_3gpuE5ELNS1_3repE0EEENS1_30default_config_static_selectorELNS0_4arch9wavefront6targetE0EEEvT1_.uses_flat_scratch, 0
	.set _ZN7rocprim17ROCPRIM_400000_NS6detail17trampoline_kernelINS0_14default_configENS1_20scan_config_selectorIjEEZZNS1_9scan_implILNS1_25lookback_scan_determinismE0ELb1ELb1ES3_PjS8_jN6hipcub16HIPCUB_304000_NS3SumEjEEDaPvRmT3_T4_T5_mT6_P12ihipStream_tbENKUlT_T0_E_clISt17integral_constantIbLb0EESP_EEDaSK_SL_EUlSK_E0_NS1_11comp_targetILNS1_3genE10ELNS1_11target_archE1201ELNS1_3gpuE5ELNS1_3repE0EEENS1_30default_config_static_selectorELNS0_4arch9wavefront6targetE0EEEvT1_.has_dyn_sized_stack, 0
	.set _ZN7rocprim17ROCPRIM_400000_NS6detail17trampoline_kernelINS0_14default_configENS1_20scan_config_selectorIjEEZZNS1_9scan_implILNS1_25lookback_scan_determinismE0ELb1ELb1ES3_PjS8_jN6hipcub16HIPCUB_304000_NS3SumEjEEDaPvRmT3_T4_T5_mT6_P12ihipStream_tbENKUlT_T0_E_clISt17integral_constantIbLb0EESP_EEDaSK_SL_EUlSK_E0_NS1_11comp_targetILNS1_3genE10ELNS1_11target_archE1201ELNS1_3gpuE5ELNS1_3repE0EEENS1_30default_config_static_selectorELNS0_4arch9wavefront6targetE0EEEvT1_.has_recursion, 0
	.set _ZN7rocprim17ROCPRIM_400000_NS6detail17trampoline_kernelINS0_14default_configENS1_20scan_config_selectorIjEEZZNS1_9scan_implILNS1_25lookback_scan_determinismE0ELb1ELb1ES3_PjS8_jN6hipcub16HIPCUB_304000_NS3SumEjEEDaPvRmT3_T4_T5_mT6_P12ihipStream_tbENKUlT_T0_E_clISt17integral_constantIbLb0EESP_EEDaSK_SL_EUlSK_E0_NS1_11comp_targetILNS1_3genE10ELNS1_11target_archE1201ELNS1_3gpuE5ELNS1_3repE0EEENS1_30default_config_static_selectorELNS0_4arch9wavefront6targetE0EEEvT1_.has_indirect_call, 0
	.section	.AMDGPU.csdata,"",@progbits
; Kernel info:
; codeLenInByte = 0
; TotalNumSgprs: 0
; NumVgprs: 0
; ScratchSize: 0
; MemoryBound: 0
; FloatMode: 240
; IeeeMode: 1
; LDSByteSize: 0 bytes/workgroup (compile time only)
; SGPRBlocks: 0
; VGPRBlocks: 0
; NumSGPRsForWavesPerEU: 1
; NumVGPRsForWavesPerEU: 1
; NamedBarCnt: 0
; Occupancy: 16
; WaveLimiterHint : 0
; COMPUTE_PGM_RSRC2:SCRATCH_EN: 0
; COMPUTE_PGM_RSRC2:USER_SGPR: 2
; COMPUTE_PGM_RSRC2:TRAP_HANDLER: 0
; COMPUTE_PGM_RSRC2:TGID_X_EN: 1
; COMPUTE_PGM_RSRC2:TGID_Y_EN: 0
; COMPUTE_PGM_RSRC2:TGID_Z_EN: 0
; COMPUTE_PGM_RSRC2:TIDIG_COMP_CNT: 0
	.section	.text._ZN7rocprim17ROCPRIM_400000_NS6detail17trampoline_kernelINS0_14default_configENS1_20scan_config_selectorIjEEZZNS1_9scan_implILNS1_25lookback_scan_determinismE0ELb1ELb1ES3_PjS8_jN6hipcub16HIPCUB_304000_NS3SumEjEEDaPvRmT3_T4_T5_mT6_P12ihipStream_tbENKUlT_T0_E_clISt17integral_constantIbLb0EESP_EEDaSK_SL_EUlSK_E0_NS1_11comp_targetILNS1_3genE10ELNS1_11target_archE1200ELNS1_3gpuE4ELNS1_3repE0EEENS1_30default_config_static_selectorELNS0_4arch9wavefront6targetE0EEEvT1_,"axG",@progbits,_ZN7rocprim17ROCPRIM_400000_NS6detail17trampoline_kernelINS0_14default_configENS1_20scan_config_selectorIjEEZZNS1_9scan_implILNS1_25lookback_scan_determinismE0ELb1ELb1ES3_PjS8_jN6hipcub16HIPCUB_304000_NS3SumEjEEDaPvRmT3_T4_T5_mT6_P12ihipStream_tbENKUlT_T0_E_clISt17integral_constantIbLb0EESP_EEDaSK_SL_EUlSK_E0_NS1_11comp_targetILNS1_3genE10ELNS1_11target_archE1200ELNS1_3gpuE4ELNS1_3repE0EEENS1_30default_config_static_selectorELNS0_4arch9wavefront6targetE0EEEvT1_,comdat
	.protected	_ZN7rocprim17ROCPRIM_400000_NS6detail17trampoline_kernelINS0_14default_configENS1_20scan_config_selectorIjEEZZNS1_9scan_implILNS1_25lookback_scan_determinismE0ELb1ELb1ES3_PjS8_jN6hipcub16HIPCUB_304000_NS3SumEjEEDaPvRmT3_T4_T5_mT6_P12ihipStream_tbENKUlT_T0_E_clISt17integral_constantIbLb0EESP_EEDaSK_SL_EUlSK_E0_NS1_11comp_targetILNS1_3genE10ELNS1_11target_archE1200ELNS1_3gpuE4ELNS1_3repE0EEENS1_30default_config_static_selectorELNS0_4arch9wavefront6targetE0EEEvT1_ ; -- Begin function _ZN7rocprim17ROCPRIM_400000_NS6detail17trampoline_kernelINS0_14default_configENS1_20scan_config_selectorIjEEZZNS1_9scan_implILNS1_25lookback_scan_determinismE0ELb1ELb1ES3_PjS8_jN6hipcub16HIPCUB_304000_NS3SumEjEEDaPvRmT3_T4_T5_mT6_P12ihipStream_tbENKUlT_T0_E_clISt17integral_constantIbLb0EESP_EEDaSK_SL_EUlSK_E0_NS1_11comp_targetILNS1_3genE10ELNS1_11target_archE1200ELNS1_3gpuE4ELNS1_3repE0EEENS1_30default_config_static_selectorELNS0_4arch9wavefront6targetE0EEEvT1_
	.globl	_ZN7rocprim17ROCPRIM_400000_NS6detail17trampoline_kernelINS0_14default_configENS1_20scan_config_selectorIjEEZZNS1_9scan_implILNS1_25lookback_scan_determinismE0ELb1ELb1ES3_PjS8_jN6hipcub16HIPCUB_304000_NS3SumEjEEDaPvRmT3_T4_T5_mT6_P12ihipStream_tbENKUlT_T0_E_clISt17integral_constantIbLb0EESP_EEDaSK_SL_EUlSK_E0_NS1_11comp_targetILNS1_3genE10ELNS1_11target_archE1200ELNS1_3gpuE4ELNS1_3repE0EEENS1_30default_config_static_selectorELNS0_4arch9wavefront6targetE0EEEvT1_
	.p2align	8
	.type	_ZN7rocprim17ROCPRIM_400000_NS6detail17trampoline_kernelINS0_14default_configENS1_20scan_config_selectorIjEEZZNS1_9scan_implILNS1_25lookback_scan_determinismE0ELb1ELb1ES3_PjS8_jN6hipcub16HIPCUB_304000_NS3SumEjEEDaPvRmT3_T4_T5_mT6_P12ihipStream_tbENKUlT_T0_E_clISt17integral_constantIbLb0EESP_EEDaSK_SL_EUlSK_E0_NS1_11comp_targetILNS1_3genE10ELNS1_11target_archE1200ELNS1_3gpuE4ELNS1_3repE0EEENS1_30default_config_static_selectorELNS0_4arch9wavefront6targetE0EEEvT1_,@function
_ZN7rocprim17ROCPRIM_400000_NS6detail17trampoline_kernelINS0_14default_configENS1_20scan_config_selectorIjEEZZNS1_9scan_implILNS1_25lookback_scan_determinismE0ELb1ELb1ES3_PjS8_jN6hipcub16HIPCUB_304000_NS3SumEjEEDaPvRmT3_T4_T5_mT6_P12ihipStream_tbENKUlT_T0_E_clISt17integral_constantIbLb0EESP_EEDaSK_SL_EUlSK_E0_NS1_11comp_targetILNS1_3genE10ELNS1_11target_archE1200ELNS1_3gpuE4ELNS1_3repE0EEENS1_30default_config_static_selectorELNS0_4arch9wavefront6targetE0EEEvT1_: ; @_ZN7rocprim17ROCPRIM_400000_NS6detail17trampoline_kernelINS0_14default_configENS1_20scan_config_selectorIjEEZZNS1_9scan_implILNS1_25lookback_scan_determinismE0ELb1ELb1ES3_PjS8_jN6hipcub16HIPCUB_304000_NS3SumEjEEDaPvRmT3_T4_T5_mT6_P12ihipStream_tbENKUlT_T0_E_clISt17integral_constantIbLb0EESP_EEDaSK_SL_EUlSK_E0_NS1_11comp_targetILNS1_3genE10ELNS1_11target_archE1200ELNS1_3gpuE4ELNS1_3repE0EEENS1_30default_config_static_selectorELNS0_4arch9wavefront6targetE0EEEvT1_
; %bb.0:
	.section	.rodata,"a",@progbits
	.p2align	6, 0x0
	.amdhsa_kernel _ZN7rocprim17ROCPRIM_400000_NS6detail17trampoline_kernelINS0_14default_configENS1_20scan_config_selectorIjEEZZNS1_9scan_implILNS1_25lookback_scan_determinismE0ELb1ELb1ES3_PjS8_jN6hipcub16HIPCUB_304000_NS3SumEjEEDaPvRmT3_T4_T5_mT6_P12ihipStream_tbENKUlT_T0_E_clISt17integral_constantIbLb0EESP_EEDaSK_SL_EUlSK_E0_NS1_11comp_targetILNS1_3genE10ELNS1_11target_archE1200ELNS1_3gpuE4ELNS1_3repE0EEENS1_30default_config_static_selectorELNS0_4arch9wavefront6targetE0EEEvT1_
		.amdhsa_group_segment_fixed_size 0
		.amdhsa_private_segment_fixed_size 0
		.amdhsa_kernarg_size 32
		.amdhsa_user_sgpr_count 2
		.amdhsa_user_sgpr_dispatch_ptr 0
		.amdhsa_user_sgpr_queue_ptr 0
		.amdhsa_user_sgpr_kernarg_segment_ptr 1
		.amdhsa_user_sgpr_dispatch_id 0
		.amdhsa_user_sgpr_kernarg_preload_length 0
		.amdhsa_user_sgpr_kernarg_preload_offset 0
		.amdhsa_user_sgpr_private_segment_size 0
		.amdhsa_wavefront_size32 1
		.amdhsa_uses_dynamic_stack 0
		.amdhsa_enable_private_segment 0
		.amdhsa_system_sgpr_workgroup_id_x 1
		.amdhsa_system_sgpr_workgroup_id_y 0
		.amdhsa_system_sgpr_workgroup_id_z 0
		.amdhsa_system_sgpr_workgroup_info 0
		.amdhsa_system_vgpr_workitem_id 0
		.amdhsa_next_free_vgpr 1
		.amdhsa_next_free_sgpr 1
		.amdhsa_named_barrier_count 0
		.amdhsa_reserve_vcc 0
		.amdhsa_float_round_mode_32 0
		.amdhsa_float_round_mode_16_64 0
		.amdhsa_float_denorm_mode_32 3
		.amdhsa_float_denorm_mode_16_64 3
		.amdhsa_fp16_overflow 0
		.amdhsa_memory_ordered 1
		.amdhsa_forward_progress 1
		.amdhsa_inst_pref_size 0
		.amdhsa_round_robin_scheduling 0
		.amdhsa_exception_fp_ieee_invalid_op 0
		.amdhsa_exception_fp_denorm_src 0
		.amdhsa_exception_fp_ieee_div_zero 0
		.amdhsa_exception_fp_ieee_overflow 0
		.amdhsa_exception_fp_ieee_underflow 0
		.amdhsa_exception_fp_ieee_inexact 0
		.amdhsa_exception_int_div_zero 0
	.end_amdhsa_kernel
	.section	.text._ZN7rocprim17ROCPRIM_400000_NS6detail17trampoline_kernelINS0_14default_configENS1_20scan_config_selectorIjEEZZNS1_9scan_implILNS1_25lookback_scan_determinismE0ELb1ELb1ES3_PjS8_jN6hipcub16HIPCUB_304000_NS3SumEjEEDaPvRmT3_T4_T5_mT6_P12ihipStream_tbENKUlT_T0_E_clISt17integral_constantIbLb0EESP_EEDaSK_SL_EUlSK_E0_NS1_11comp_targetILNS1_3genE10ELNS1_11target_archE1200ELNS1_3gpuE4ELNS1_3repE0EEENS1_30default_config_static_selectorELNS0_4arch9wavefront6targetE0EEEvT1_,"axG",@progbits,_ZN7rocprim17ROCPRIM_400000_NS6detail17trampoline_kernelINS0_14default_configENS1_20scan_config_selectorIjEEZZNS1_9scan_implILNS1_25lookback_scan_determinismE0ELb1ELb1ES3_PjS8_jN6hipcub16HIPCUB_304000_NS3SumEjEEDaPvRmT3_T4_T5_mT6_P12ihipStream_tbENKUlT_T0_E_clISt17integral_constantIbLb0EESP_EEDaSK_SL_EUlSK_E0_NS1_11comp_targetILNS1_3genE10ELNS1_11target_archE1200ELNS1_3gpuE4ELNS1_3repE0EEENS1_30default_config_static_selectorELNS0_4arch9wavefront6targetE0EEEvT1_,comdat
.Lfunc_end25:
	.size	_ZN7rocprim17ROCPRIM_400000_NS6detail17trampoline_kernelINS0_14default_configENS1_20scan_config_selectorIjEEZZNS1_9scan_implILNS1_25lookback_scan_determinismE0ELb1ELb1ES3_PjS8_jN6hipcub16HIPCUB_304000_NS3SumEjEEDaPvRmT3_T4_T5_mT6_P12ihipStream_tbENKUlT_T0_E_clISt17integral_constantIbLb0EESP_EEDaSK_SL_EUlSK_E0_NS1_11comp_targetILNS1_3genE10ELNS1_11target_archE1200ELNS1_3gpuE4ELNS1_3repE0EEENS1_30default_config_static_selectorELNS0_4arch9wavefront6targetE0EEEvT1_, .Lfunc_end25-_ZN7rocprim17ROCPRIM_400000_NS6detail17trampoline_kernelINS0_14default_configENS1_20scan_config_selectorIjEEZZNS1_9scan_implILNS1_25lookback_scan_determinismE0ELb1ELb1ES3_PjS8_jN6hipcub16HIPCUB_304000_NS3SumEjEEDaPvRmT3_T4_T5_mT6_P12ihipStream_tbENKUlT_T0_E_clISt17integral_constantIbLb0EESP_EEDaSK_SL_EUlSK_E0_NS1_11comp_targetILNS1_3genE10ELNS1_11target_archE1200ELNS1_3gpuE4ELNS1_3repE0EEENS1_30default_config_static_selectorELNS0_4arch9wavefront6targetE0EEEvT1_
                                        ; -- End function
	.set _ZN7rocprim17ROCPRIM_400000_NS6detail17trampoline_kernelINS0_14default_configENS1_20scan_config_selectorIjEEZZNS1_9scan_implILNS1_25lookback_scan_determinismE0ELb1ELb1ES3_PjS8_jN6hipcub16HIPCUB_304000_NS3SumEjEEDaPvRmT3_T4_T5_mT6_P12ihipStream_tbENKUlT_T0_E_clISt17integral_constantIbLb0EESP_EEDaSK_SL_EUlSK_E0_NS1_11comp_targetILNS1_3genE10ELNS1_11target_archE1200ELNS1_3gpuE4ELNS1_3repE0EEENS1_30default_config_static_selectorELNS0_4arch9wavefront6targetE0EEEvT1_.num_vgpr, 0
	.set _ZN7rocprim17ROCPRIM_400000_NS6detail17trampoline_kernelINS0_14default_configENS1_20scan_config_selectorIjEEZZNS1_9scan_implILNS1_25lookback_scan_determinismE0ELb1ELb1ES3_PjS8_jN6hipcub16HIPCUB_304000_NS3SumEjEEDaPvRmT3_T4_T5_mT6_P12ihipStream_tbENKUlT_T0_E_clISt17integral_constantIbLb0EESP_EEDaSK_SL_EUlSK_E0_NS1_11comp_targetILNS1_3genE10ELNS1_11target_archE1200ELNS1_3gpuE4ELNS1_3repE0EEENS1_30default_config_static_selectorELNS0_4arch9wavefront6targetE0EEEvT1_.num_agpr, 0
	.set _ZN7rocprim17ROCPRIM_400000_NS6detail17trampoline_kernelINS0_14default_configENS1_20scan_config_selectorIjEEZZNS1_9scan_implILNS1_25lookback_scan_determinismE0ELb1ELb1ES3_PjS8_jN6hipcub16HIPCUB_304000_NS3SumEjEEDaPvRmT3_T4_T5_mT6_P12ihipStream_tbENKUlT_T0_E_clISt17integral_constantIbLb0EESP_EEDaSK_SL_EUlSK_E0_NS1_11comp_targetILNS1_3genE10ELNS1_11target_archE1200ELNS1_3gpuE4ELNS1_3repE0EEENS1_30default_config_static_selectorELNS0_4arch9wavefront6targetE0EEEvT1_.numbered_sgpr, 0
	.set _ZN7rocprim17ROCPRIM_400000_NS6detail17trampoline_kernelINS0_14default_configENS1_20scan_config_selectorIjEEZZNS1_9scan_implILNS1_25lookback_scan_determinismE0ELb1ELb1ES3_PjS8_jN6hipcub16HIPCUB_304000_NS3SumEjEEDaPvRmT3_T4_T5_mT6_P12ihipStream_tbENKUlT_T0_E_clISt17integral_constantIbLb0EESP_EEDaSK_SL_EUlSK_E0_NS1_11comp_targetILNS1_3genE10ELNS1_11target_archE1200ELNS1_3gpuE4ELNS1_3repE0EEENS1_30default_config_static_selectorELNS0_4arch9wavefront6targetE0EEEvT1_.num_named_barrier, 0
	.set _ZN7rocprim17ROCPRIM_400000_NS6detail17trampoline_kernelINS0_14default_configENS1_20scan_config_selectorIjEEZZNS1_9scan_implILNS1_25lookback_scan_determinismE0ELb1ELb1ES3_PjS8_jN6hipcub16HIPCUB_304000_NS3SumEjEEDaPvRmT3_T4_T5_mT6_P12ihipStream_tbENKUlT_T0_E_clISt17integral_constantIbLb0EESP_EEDaSK_SL_EUlSK_E0_NS1_11comp_targetILNS1_3genE10ELNS1_11target_archE1200ELNS1_3gpuE4ELNS1_3repE0EEENS1_30default_config_static_selectorELNS0_4arch9wavefront6targetE0EEEvT1_.private_seg_size, 0
	.set _ZN7rocprim17ROCPRIM_400000_NS6detail17trampoline_kernelINS0_14default_configENS1_20scan_config_selectorIjEEZZNS1_9scan_implILNS1_25lookback_scan_determinismE0ELb1ELb1ES3_PjS8_jN6hipcub16HIPCUB_304000_NS3SumEjEEDaPvRmT3_T4_T5_mT6_P12ihipStream_tbENKUlT_T0_E_clISt17integral_constantIbLb0EESP_EEDaSK_SL_EUlSK_E0_NS1_11comp_targetILNS1_3genE10ELNS1_11target_archE1200ELNS1_3gpuE4ELNS1_3repE0EEENS1_30default_config_static_selectorELNS0_4arch9wavefront6targetE0EEEvT1_.uses_vcc, 0
	.set _ZN7rocprim17ROCPRIM_400000_NS6detail17trampoline_kernelINS0_14default_configENS1_20scan_config_selectorIjEEZZNS1_9scan_implILNS1_25lookback_scan_determinismE0ELb1ELb1ES3_PjS8_jN6hipcub16HIPCUB_304000_NS3SumEjEEDaPvRmT3_T4_T5_mT6_P12ihipStream_tbENKUlT_T0_E_clISt17integral_constantIbLb0EESP_EEDaSK_SL_EUlSK_E0_NS1_11comp_targetILNS1_3genE10ELNS1_11target_archE1200ELNS1_3gpuE4ELNS1_3repE0EEENS1_30default_config_static_selectorELNS0_4arch9wavefront6targetE0EEEvT1_.uses_flat_scratch, 0
	.set _ZN7rocprim17ROCPRIM_400000_NS6detail17trampoline_kernelINS0_14default_configENS1_20scan_config_selectorIjEEZZNS1_9scan_implILNS1_25lookback_scan_determinismE0ELb1ELb1ES3_PjS8_jN6hipcub16HIPCUB_304000_NS3SumEjEEDaPvRmT3_T4_T5_mT6_P12ihipStream_tbENKUlT_T0_E_clISt17integral_constantIbLb0EESP_EEDaSK_SL_EUlSK_E0_NS1_11comp_targetILNS1_3genE10ELNS1_11target_archE1200ELNS1_3gpuE4ELNS1_3repE0EEENS1_30default_config_static_selectorELNS0_4arch9wavefront6targetE0EEEvT1_.has_dyn_sized_stack, 0
	.set _ZN7rocprim17ROCPRIM_400000_NS6detail17trampoline_kernelINS0_14default_configENS1_20scan_config_selectorIjEEZZNS1_9scan_implILNS1_25lookback_scan_determinismE0ELb1ELb1ES3_PjS8_jN6hipcub16HIPCUB_304000_NS3SumEjEEDaPvRmT3_T4_T5_mT6_P12ihipStream_tbENKUlT_T0_E_clISt17integral_constantIbLb0EESP_EEDaSK_SL_EUlSK_E0_NS1_11comp_targetILNS1_3genE10ELNS1_11target_archE1200ELNS1_3gpuE4ELNS1_3repE0EEENS1_30default_config_static_selectorELNS0_4arch9wavefront6targetE0EEEvT1_.has_recursion, 0
	.set _ZN7rocprim17ROCPRIM_400000_NS6detail17trampoline_kernelINS0_14default_configENS1_20scan_config_selectorIjEEZZNS1_9scan_implILNS1_25lookback_scan_determinismE0ELb1ELb1ES3_PjS8_jN6hipcub16HIPCUB_304000_NS3SumEjEEDaPvRmT3_T4_T5_mT6_P12ihipStream_tbENKUlT_T0_E_clISt17integral_constantIbLb0EESP_EEDaSK_SL_EUlSK_E0_NS1_11comp_targetILNS1_3genE10ELNS1_11target_archE1200ELNS1_3gpuE4ELNS1_3repE0EEENS1_30default_config_static_selectorELNS0_4arch9wavefront6targetE0EEEvT1_.has_indirect_call, 0
	.section	.AMDGPU.csdata,"",@progbits
; Kernel info:
; codeLenInByte = 0
; TotalNumSgprs: 0
; NumVgprs: 0
; ScratchSize: 0
; MemoryBound: 0
; FloatMode: 240
; IeeeMode: 1
; LDSByteSize: 0 bytes/workgroup (compile time only)
; SGPRBlocks: 0
; VGPRBlocks: 0
; NumSGPRsForWavesPerEU: 1
; NumVGPRsForWavesPerEU: 1
; NamedBarCnt: 0
; Occupancy: 16
; WaveLimiterHint : 0
; COMPUTE_PGM_RSRC2:SCRATCH_EN: 0
; COMPUTE_PGM_RSRC2:USER_SGPR: 2
; COMPUTE_PGM_RSRC2:TRAP_HANDLER: 0
; COMPUTE_PGM_RSRC2:TGID_X_EN: 1
; COMPUTE_PGM_RSRC2:TGID_Y_EN: 0
; COMPUTE_PGM_RSRC2:TGID_Z_EN: 0
; COMPUTE_PGM_RSRC2:TIDIG_COMP_CNT: 0
	.section	.text._ZN7rocprim17ROCPRIM_400000_NS6detail17trampoline_kernelINS0_14default_configENS1_20scan_config_selectorIjEEZZNS1_9scan_implILNS1_25lookback_scan_determinismE0ELb1ELb1ES3_PjS8_jN6hipcub16HIPCUB_304000_NS3SumEjEEDaPvRmT3_T4_T5_mT6_P12ihipStream_tbENKUlT_T0_E_clISt17integral_constantIbLb0EESP_EEDaSK_SL_EUlSK_E0_NS1_11comp_targetILNS1_3genE9ELNS1_11target_archE1100ELNS1_3gpuE3ELNS1_3repE0EEENS1_30default_config_static_selectorELNS0_4arch9wavefront6targetE0EEEvT1_,"axG",@progbits,_ZN7rocprim17ROCPRIM_400000_NS6detail17trampoline_kernelINS0_14default_configENS1_20scan_config_selectorIjEEZZNS1_9scan_implILNS1_25lookback_scan_determinismE0ELb1ELb1ES3_PjS8_jN6hipcub16HIPCUB_304000_NS3SumEjEEDaPvRmT3_T4_T5_mT6_P12ihipStream_tbENKUlT_T0_E_clISt17integral_constantIbLb0EESP_EEDaSK_SL_EUlSK_E0_NS1_11comp_targetILNS1_3genE9ELNS1_11target_archE1100ELNS1_3gpuE3ELNS1_3repE0EEENS1_30default_config_static_selectorELNS0_4arch9wavefront6targetE0EEEvT1_,comdat
	.protected	_ZN7rocprim17ROCPRIM_400000_NS6detail17trampoline_kernelINS0_14default_configENS1_20scan_config_selectorIjEEZZNS1_9scan_implILNS1_25lookback_scan_determinismE0ELb1ELb1ES3_PjS8_jN6hipcub16HIPCUB_304000_NS3SumEjEEDaPvRmT3_T4_T5_mT6_P12ihipStream_tbENKUlT_T0_E_clISt17integral_constantIbLb0EESP_EEDaSK_SL_EUlSK_E0_NS1_11comp_targetILNS1_3genE9ELNS1_11target_archE1100ELNS1_3gpuE3ELNS1_3repE0EEENS1_30default_config_static_selectorELNS0_4arch9wavefront6targetE0EEEvT1_ ; -- Begin function _ZN7rocprim17ROCPRIM_400000_NS6detail17trampoline_kernelINS0_14default_configENS1_20scan_config_selectorIjEEZZNS1_9scan_implILNS1_25lookback_scan_determinismE0ELb1ELb1ES3_PjS8_jN6hipcub16HIPCUB_304000_NS3SumEjEEDaPvRmT3_T4_T5_mT6_P12ihipStream_tbENKUlT_T0_E_clISt17integral_constantIbLb0EESP_EEDaSK_SL_EUlSK_E0_NS1_11comp_targetILNS1_3genE9ELNS1_11target_archE1100ELNS1_3gpuE3ELNS1_3repE0EEENS1_30default_config_static_selectorELNS0_4arch9wavefront6targetE0EEEvT1_
	.globl	_ZN7rocprim17ROCPRIM_400000_NS6detail17trampoline_kernelINS0_14default_configENS1_20scan_config_selectorIjEEZZNS1_9scan_implILNS1_25lookback_scan_determinismE0ELb1ELb1ES3_PjS8_jN6hipcub16HIPCUB_304000_NS3SumEjEEDaPvRmT3_T4_T5_mT6_P12ihipStream_tbENKUlT_T0_E_clISt17integral_constantIbLb0EESP_EEDaSK_SL_EUlSK_E0_NS1_11comp_targetILNS1_3genE9ELNS1_11target_archE1100ELNS1_3gpuE3ELNS1_3repE0EEENS1_30default_config_static_selectorELNS0_4arch9wavefront6targetE0EEEvT1_
	.p2align	8
	.type	_ZN7rocprim17ROCPRIM_400000_NS6detail17trampoline_kernelINS0_14default_configENS1_20scan_config_selectorIjEEZZNS1_9scan_implILNS1_25lookback_scan_determinismE0ELb1ELb1ES3_PjS8_jN6hipcub16HIPCUB_304000_NS3SumEjEEDaPvRmT3_T4_T5_mT6_P12ihipStream_tbENKUlT_T0_E_clISt17integral_constantIbLb0EESP_EEDaSK_SL_EUlSK_E0_NS1_11comp_targetILNS1_3genE9ELNS1_11target_archE1100ELNS1_3gpuE3ELNS1_3repE0EEENS1_30default_config_static_selectorELNS0_4arch9wavefront6targetE0EEEvT1_,@function
_ZN7rocprim17ROCPRIM_400000_NS6detail17trampoline_kernelINS0_14default_configENS1_20scan_config_selectorIjEEZZNS1_9scan_implILNS1_25lookback_scan_determinismE0ELb1ELb1ES3_PjS8_jN6hipcub16HIPCUB_304000_NS3SumEjEEDaPvRmT3_T4_T5_mT6_P12ihipStream_tbENKUlT_T0_E_clISt17integral_constantIbLb0EESP_EEDaSK_SL_EUlSK_E0_NS1_11comp_targetILNS1_3genE9ELNS1_11target_archE1100ELNS1_3gpuE3ELNS1_3repE0EEENS1_30default_config_static_selectorELNS0_4arch9wavefront6targetE0EEEvT1_: ; @_ZN7rocprim17ROCPRIM_400000_NS6detail17trampoline_kernelINS0_14default_configENS1_20scan_config_selectorIjEEZZNS1_9scan_implILNS1_25lookback_scan_determinismE0ELb1ELb1ES3_PjS8_jN6hipcub16HIPCUB_304000_NS3SumEjEEDaPvRmT3_T4_T5_mT6_P12ihipStream_tbENKUlT_T0_E_clISt17integral_constantIbLb0EESP_EEDaSK_SL_EUlSK_E0_NS1_11comp_targetILNS1_3genE9ELNS1_11target_archE1100ELNS1_3gpuE3ELNS1_3repE0EEENS1_30default_config_static_selectorELNS0_4arch9wavefront6targetE0EEEvT1_
; %bb.0:
	.section	.rodata,"a",@progbits
	.p2align	6, 0x0
	.amdhsa_kernel _ZN7rocprim17ROCPRIM_400000_NS6detail17trampoline_kernelINS0_14default_configENS1_20scan_config_selectorIjEEZZNS1_9scan_implILNS1_25lookback_scan_determinismE0ELb1ELb1ES3_PjS8_jN6hipcub16HIPCUB_304000_NS3SumEjEEDaPvRmT3_T4_T5_mT6_P12ihipStream_tbENKUlT_T0_E_clISt17integral_constantIbLb0EESP_EEDaSK_SL_EUlSK_E0_NS1_11comp_targetILNS1_3genE9ELNS1_11target_archE1100ELNS1_3gpuE3ELNS1_3repE0EEENS1_30default_config_static_selectorELNS0_4arch9wavefront6targetE0EEEvT1_
		.amdhsa_group_segment_fixed_size 0
		.amdhsa_private_segment_fixed_size 0
		.amdhsa_kernarg_size 32
		.amdhsa_user_sgpr_count 2
		.amdhsa_user_sgpr_dispatch_ptr 0
		.amdhsa_user_sgpr_queue_ptr 0
		.amdhsa_user_sgpr_kernarg_segment_ptr 1
		.amdhsa_user_sgpr_dispatch_id 0
		.amdhsa_user_sgpr_kernarg_preload_length 0
		.amdhsa_user_sgpr_kernarg_preload_offset 0
		.amdhsa_user_sgpr_private_segment_size 0
		.amdhsa_wavefront_size32 1
		.amdhsa_uses_dynamic_stack 0
		.amdhsa_enable_private_segment 0
		.amdhsa_system_sgpr_workgroup_id_x 1
		.amdhsa_system_sgpr_workgroup_id_y 0
		.amdhsa_system_sgpr_workgroup_id_z 0
		.amdhsa_system_sgpr_workgroup_info 0
		.amdhsa_system_vgpr_workitem_id 0
		.amdhsa_next_free_vgpr 1
		.amdhsa_next_free_sgpr 1
		.amdhsa_named_barrier_count 0
		.amdhsa_reserve_vcc 0
		.amdhsa_float_round_mode_32 0
		.amdhsa_float_round_mode_16_64 0
		.amdhsa_float_denorm_mode_32 3
		.amdhsa_float_denorm_mode_16_64 3
		.amdhsa_fp16_overflow 0
		.amdhsa_memory_ordered 1
		.amdhsa_forward_progress 1
		.amdhsa_inst_pref_size 0
		.amdhsa_round_robin_scheduling 0
		.amdhsa_exception_fp_ieee_invalid_op 0
		.amdhsa_exception_fp_denorm_src 0
		.amdhsa_exception_fp_ieee_div_zero 0
		.amdhsa_exception_fp_ieee_overflow 0
		.amdhsa_exception_fp_ieee_underflow 0
		.amdhsa_exception_fp_ieee_inexact 0
		.amdhsa_exception_int_div_zero 0
	.end_amdhsa_kernel
	.section	.text._ZN7rocprim17ROCPRIM_400000_NS6detail17trampoline_kernelINS0_14default_configENS1_20scan_config_selectorIjEEZZNS1_9scan_implILNS1_25lookback_scan_determinismE0ELb1ELb1ES3_PjS8_jN6hipcub16HIPCUB_304000_NS3SumEjEEDaPvRmT3_T4_T5_mT6_P12ihipStream_tbENKUlT_T0_E_clISt17integral_constantIbLb0EESP_EEDaSK_SL_EUlSK_E0_NS1_11comp_targetILNS1_3genE9ELNS1_11target_archE1100ELNS1_3gpuE3ELNS1_3repE0EEENS1_30default_config_static_selectorELNS0_4arch9wavefront6targetE0EEEvT1_,"axG",@progbits,_ZN7rocprim17ROCPRIM_400000_NS6detail17trampoline_kernelINS0_14default_configENS1_20scan_config_selectorIjEEZZNS1_9scan_implILNS1_25lookback_scan_determinismE0ELb1ELb1ES3_PjS8_jN6hipcub16HIPCUB_304000_NS3SumEjEEDaPvRmT3_T4_T5_mT6_P12ihipStream_tbENKUlT_T0_E_clISt17integral_constantIbLb0EESP_EEDaSK_SL_EUlSK_E0_NS1_11comp_targetILNS1_3genE9ELNS1_11target_archE1100ELNS1_3gpuE3ELNS1_3repE0EEENS1_30default_config_static_selectorELNS0_4arch9wavefront6targetE0EEEvT1_,comdat
.Lfunc_end26:
	.size	_ZN7rocprim17ROCPRIM_400000_NS6detail17trampoline_kernelINS0_14default_configENS1_20scan_config_selectorIjEEZZNS1_9scan_implILNS1_25lookback_scan_determinismE0ELb1ELb1ES3_PjS8_jN6hipcub16HIPCUB_304000_NS3SumEjEEDaPvRmT3_T4_T5_mT6_P12ihipStream_tbENKUlT_T0_E_clISt17integral_constantIbLb0EESP_EEDaSK_SL_EUlSK_E0_NS1_11comp_targetILNS1_3genE9ELNS1_11target_archE1100ELNS1_3gpuE3ELNS1_3repE0EEENS1_30default_config_static_selectorELNS0_4arch9wavefront6targetE0EEEvT1_, .Lfunc_end26-_ZN7rocprim17ROCPRIM_400000_NS6detail17trampoline_kernelINS0_14default_configENS1_20scan_config_selectorIjEEZZNS1_9scan_implILNS1_25lookback_scan_determinismE0ELb1ELb1ES3_PjS8_jN6hipcub16HIPCUB_304000_NS3SumEjEEDaPvRmT3_T4_T5_mT6_P12ihipStream_tbENKUlT_T0_E_clISt17integral_constantIbLb0EESP_EEDaSK_SL_EUlSK_E0_NS1_11comp_targetILNS1_3genE9ELNS1_11target_archE1100ELNS1_3gpuE3ELNS1_3repE0EEENS1_30default_config_static_selectorELNS0_4arch9wavefront6targetE0EEEvT1_
                                        ; -- End function
	.set _ZN7rocprim17ROCPRIM_400000_NS6detail17trampoline_kernelINS0_14default_configENS1_20scan_config_selectorIjEEZZNS1_9scan_implILNS1_25lookback_scan_determinismE0ELb1ELb1ES3_PjS8_jN6hipcub16HIPCUB_304000_NS3SumEjEEDaPvRmT3_T4_T5_mT6_P12ihipStream_tbENKUlT_T0_E_clISt17integral_constantIbLb0EESP_EEDaSK_SL_EUlSK_E0_NS1_11comp_targetILNS1_3genE9ELNS1_11target_archE1100ELNS1_3gpuE3ELNS1_3repE0EEENS1_30default_config_static_selectorELNS0_4arch9wavefront6targetE0EEEvT1_.num_vgpr, 0
	.set _ZN7rocprim17ROCPRIM_400000_NS6detail17trampoline_kernelINS0_14default_configENS1_20scan_config_selectorIjEEZZNS1_9scan_implILNS1_25lookback_scan_determinismE0ELb1ELb1ES3_PjS8_jN6hipcub16HIPCUB_304000_NS3SumEjEEDaPvRmT3_T4_T5_mT6_P12ihipStream_tbENKUlT_T0_E_clISt17integral_constantIbLb0EESP_EEDaSK_SL_EUlSK_E0_NS1_11comp_targetILNS1_3genE9ELNS1_11target_archE1100ELNS1_3gpuE3ELNS1_3repE0EEENS1_30default_config_static_selectorELNS0_4arch9wavefront6targetE0EEEvT1_.num_agpr, 0
	.set _ZN7rocprim17ROCPRIM_400000_NS6detail17trampoline_kernelINS0_14default_configENS1_20scan_config_selectorIjEEZZNS1_9scan_implILNS1_25lookback_scan_determinismE0ELb1ELb1ES3_PjS8_jN6hipcub16HIPCUB_304000_NS3SumEjEEDaPvRmT3_T4_T5_mT6_P12ihipStream_tbENKUlT_T0_E_clISt17integral_constantIbLb0EESP_EEDaSK_SL_EUlSK_E0_NS1_11comp_targetILNS1_3genE9ELNS1_11target_archE1100ELNS1_3gpuE3ELNS1_3repE0EEENS1_30default_config_static_selectorELNS0_4arch9wavefront6targetE0EEEvT1_.numbered_sgpr, 0
	.set _ZN7rocprim17ROCPRIM_400000_NS6detail17trampoline_kernelINS0_14default_configENS1_20scan_config_selectorIjEEZZNS1_9scan_implILNS1_25lookback_scan_determinismE0ELb1ELb1ES3_PjS8_jN6hipcub16HIPCUB_304000_NS3SumEjEEDaPvRmT3_T4_T5_mT6_P12ihipStream_tbENKUlT_T0_E_clISt17integral_constantIbLb0EESP_EEDaSK_SL_EUlSK_E0_NS1_11comp_targetILNS1_3genE9ELNS1_11target_archE1100ELNS1_3gpuE3ELNS1_3repE0EEENS1_30default_config_static_selectorELNS0_4arch9wavefront6targetE0EEEvT1_.num_named_barrier, 0
	.set _ZN7rocprim17ROCPRIM_400000_NS6detail17trampoline_kernelINS0_14default_configENS1_20scan_config_selectorIjEEZZNS1_9scan_implILNS1_25lookback_scan_determinismE0ELb1ELb1ES3_PjS8_jN6hipcub16HIPCUB_304000_NS3SumEjEEDaPvRmT3_T4_T5_mT6_P12ihipStream_tbENKUlT_T0_E_clISt17integral_constantIbLb0EESP_EEDaSK_SL_EUlSK_E0_NS1_11comp_targetILNS1_3genE9ELNS1_11target_archE1100ELNS1_3gpuE3ELNS1_3repE0EEENS1_30default_config_static_selectorELNS0_4arch9wavefront6targetE0EEEvT1_.private_seg_size, 0
	.set _ZN7rocprim17ROCPRIM_400000_NS6detail17trampoline_kernelINS0_14default_configENS1_20scan_config_selectorIjEEZZNS1_9scan_implILNS1_25lookback_scan_determinismE0ELb1ELb1ES3_PjS8_jN6hipcub16HIPCUB_304000_NS3SumEjEEDaPvRmT3_T4_T5_mT6_P12ihipStream_tbENKUlT_T0_E_clISt17integral_constantIbLb0EESP_EEDaSK_SL_EUlSK_E0_NS1_11comp_targetILNS1_3genE9ELNS1_11target_archE1100ELNS1_3gpuE3ELNS1_3repE0EEENS1_30default_config_static_selectorELNS0_4arch9wavefront6targetE0EEEvT1_.uses_vcc, 0
	.set _ZN7rocprim17ROCPRIM_400000_NS6detail17trampoline_kernelINS0_14default_configENS1_20scan_config_selectorIjEEZZNS1_9scan_implILNS1_25lookback_scan_determinismE0ELb1ELb1ES3_PjS8_jN6hipcub16HIPCUB_304000_NS3SumEjEEDaPvRmT3_T4_T5_mT6_P12ihipStream_tbENKUlT_T0_E_clISt17integral_constantIbLb0EESP_EEDaSK_SL_EUlSK_E0_NS1_11comp_targetILNS1_3genE9ELNS1_11target_archE1100ELNS1_3gpuE3ELNS1_3repE0EEENS1_30default_config_static_selectorELNS0_4arch9wavefront6targetE0EEEvT1_.uses_flat_scratch, 0
	.set _ZN7rocprim17ROCPRIM_400000_NS6detail17trampoline_kernelINS0_14default_configENS1_20scan_config_selectorIjEEZZNS1_9scan_implILNS1_25lookback_scan_determinismE0ELb1ELb1ES3_PjS8_jN6hipcub16HIPCUB_304000_NS3SumEjEEDaPvRmT3_T4_T5_mT6_P12ihipStream_tbENKUlT_T0_E_clISt17integral_constantIbLb0EESP_EEDaSK_SL_EUlSK_E0_NS1_11comp_targetILNS1_3genE9ELNS1_11target_archE1100ELNS1_3gpuE3ELNS1_3repE0EEENS1_30default_config_static_selectorELNS0_4arch9wavefront6targetE0EEEvT1_.has_dyn_sized_stack, 0
	.set _ZN7rocprim17ROCPRIM_400000_NS6detail17trampoline_kernelINS0_14default_configENS1_20scan_config_selectorIjEEZZNS1_9scan_implILNS1_25lookback_scan_determinismE0ELb1ELb1ES3_PjS8_jN6hipcub16HIPCUB_304000_NS3SumEjEEDaPvRmT3_T4_T5_mT6_P12ihipStream_tbENKUlT_T0_E_clISt17integral_constantIbLb0EESP_EEDaSK_SL_EUlSK_E0_NS1_11comp_targetILNS1_3genE9ELNS1_11target_archE1100ELNS1_3gpuE3ELNS1_3repE0EEENS1_30default_config_static_selectorELNS0_4arch9wavefront6targetE0EEEvT1_.has_recursion, 0
	.set _ZN7rocprim17ROCPRIM_400000_NS6detail17trampoline_kernelINS0_14default_configENS1_20scan_config_selectorIjEEZZNS1_9scan_implILNS1_25lookback_scan_determinismE0ELb1ELb1ES3_PjS8_jN6hipcub16HIPCUB_304000_NS3SumEjEEDaPvRmT3_T4_T5_mT6_P12ihipStream_tbENKUlT_T0_E_clISt17integral_constantIbLb0EESP_EEDaSK_SL_EUlSK_E0_NS1_11comp_targetILNS1_3genE9ELNS1_11target_archE1100ELNS1_3gpuE3ELNS1_3repE0EEENS1_30default_config_static_selectorELNS0_4arch9wavefront6targetE0EEEvT1_.has_indirect_call, 0
	.section	.AMDGPU.csdata,"",@progbits
; Kernel info:
; codeLenInByte = 0
; TotalNumSgprs: 0
; NumVgprs: 0
; ScratchSize: 0
; MemoryBound: 0
; FloatMode: 240
; IeeeMode: 1
; LDSByteSize: 0 bytes/workgroup (compile time only)
; SGPRBlocks: 0
; VGPRBlocks: 0
; NumSGPRsForWavesPerEU: 1
; NumVGPRsForWavesPerEU: 1
; NamedBarCnt: 0
; Occupancy: 16
; WaveLimiterHint : 0
; COMPUTE_PGM_RSRC2:SCRATCH_EN: 0
; COMPUTE_PGM_RSRC2:USER_SGPR: 2
; COMPUTE_PGM_RSRC2:TRAP_HANDLER: 0
; COMPUTE_PGM_RSRC2:TGID_X_EN: 1
; COMPUTE_PGM_RSRC2:TGID_Y_EN: 0
; COMPUTE_PGM_RSRC2:TGID_Z_EN: 0
; COMPUTE_PGM_RSRC2:TIDIG_COMP_CNT: 0
	.section	.text._ZN7rocprim17ROCPRIM_400000_NS6detail17trampoline_kernelINS0_14default_configENS1_20scan_config_selectorIjEEZZNS1_9scan_implILNS1_25lookback_scan_determinismE0ELb1ELb1ES3_PjS8_jN6hipcub16HIPCUB_304000_NS3SumEjEEDaPvRmT3_T4_T5_mT6_P12ihipStream_tbENKUlT_T0_E_clISt17integral_constantIbLb0EESP_EEDaSK_SL_EUlSK_E0_NS1_11comp_targetILNS1_3genE8ELNS1_11target_archE1030ELNS1_3gpuE2ELNS1_3repE0EEENS1_30default_config_static_selectorELNS0_4arch9wavefront6targetE0EEEvT1_,"axG",@progbits,_ZN7rocprim17ROCPRIM_400000_NS6detail17trampoline_kernelINS0_14default_configENS1_20scan_config_selectorIjEEZZNS1_9scan_implILNS1_25lookback_scan_determinismE0ELb1ELb1ES3_PjS8_jN6hipcub16HIPCUB_304000_NS3SumEjEEDaPvRmT3_T4_T5_mT6_P12ihipStream_tbENKUlT_T0_E_clISt17integral_constantIbLb0EESP_EEDaSK_SL_EUlSK_E0_NS1_11comp_targetILNS1_3genE8ELNS1_11target_archE1030ELNS1_3gpuE2ELNS1_3repE0EEENS1_30default_config_static_selectorELNS0_4arch9wavefront6targetE0EEEvT1_,comdat
	.protected	_ZN7rocprim17ROCPRIM_400000_NS6detail17trampoline_kernelINS0_14default_configENS1_20scan_config_selectorIjEEZZNS1_9scan_implILNS1_25lookback_scan_determinismE0ELb1ELb1ES3_PjS8_jN6hipcub16HIPCUB_304000_NS3SumEjEEDaPvRmT3_T4_T5_mT6_P12ihipStream_tbENKUlT_T0_E_clISt17integral_constantIbLb0EESP_EEDaSK_SL_EUlSK_E0_NS1_11comp_targetILNS1_3genE8ELNS1_11target_archE1030ELNS1_3gpuE2ELNS1_3repE0EEENS1_30default_config_static_selectorELNS0_4arch9wavefront6targetE0EEEvT1_ ; -- Begin function _ZN7rocprim17ROCPRIM_400000_NS6detail17trampoline_kernelINS0_14default_configENS1_20scan_config_selectorIjEEZZNS1_9scan_implILNS1_25lookback_scan_determinismE0ELb1ELb1ES3_PjS8_jN6hipcub16HIPCUB_304000_NS3SumEjEEDaPvRmT3_T4_T5_mT6_P12ihipStream_tbENKUlT_T0_E_clISt17integral_constantIbLb0EESP_EEDaSK_SL_EUlSK_E0_NS1_11comp_targetILNS1_3genE8ELNS1_11target_archE1030ELNS1_3gpuE2ELNS1_3repE0EEENS1_30default_config_static_selectorELNS0_4arch9wavefront6targetE0EEEvT1_
	.globl	_ZN7rocprim17ROCPRIM_400000_NS6detail17trampoline_kernelINS0_14default_configENS1_20scan_config_selectorIjEEZZNS1_9scan_implILNS1_25lookback_scan_determinismE0ELb1ELb1ES3_PjS8_jN6hipcub16HIPCUB_304000_NS3SumEjEEDaPvRmT3_T4_T5_mT6_P12ihipStream_tbENKUlT_T0_E_clISt17integral_constantIbLb0EESP_EEDaSK_SL_EUlSK_E0_NS1_11comp_targetILNS1_3genE8ELNS1_11target_archE1030ELNS1_3gpuE2ELNS1_3repE0EEENS1_30default_config_static_selectorELNS0_4arch9wavefront6targetE0EEEvT1_
	.p2align	8
	.type	_ZN7rocprim17ROCPRIM_400000_NS6detail17trampoline_kernelINS0_14default_configENS1_20scan_config_selectorIjEEZZNS1_9scan_implILNS1_25lookback_scan_determinismE0ELb1ELb1ES3_PjS8_jN6hipcub16HIPCUB_304000_NS3SumEjEEDaPvRmT3_T4_T5_mT6_P12ihipStream_tbENKUlT_T0_E_clISt17integral_constantIbLb0EESP_EEDaSK_SL_EUlSK_E0_NS1_11comp_targetILNS1_3genE8ELNS1_11target_archE1030ELNS1_3gpuE2ELNS1_3repE0EEENS1_30default_config_static_selectorELNS0_4arch9wavefront6targetE0EEEvT1_,@function
_ZN7rocprim17ROCPRIM_400000_NS6detail17trampoline_kernelINS0_14default_configENS1_20scan_config_selectorIjEEZZNS1_9scan_implILNS1_25lookback_scan_determinismE0ELb1ELb1ES3_PjS8_jN6hipcub16HIPCUB_304000_NS3SumEjEEDaPvRmT3_T4_T5_mT6_P12ihipStream_tbENKUlT_T0_E_clISt17integral_constantIbLb0EESP_EEDaSK_SL_EUlSK_E0_NS1_11comp_targetILNS1_3genE8ELNS1_11target_archE1030ELNS1_3gpuE2ELNS1_3repE0EEENS1_30default_config_static_selectorELNS0_4arch9wavefront6targetE0EEEvT1_: ; @_ZN7rocprim17ROCPRIM_400000_NS6detail17trampoline_kernelINS0_14default_configENS1_20scan_config_selectorIjEEZZNS1_9scan_implILNS1_25lookback_scan_determinismE0ELb1ELb1ES3_PjS8_jN6hipcub16HIPCUB_304000_NS3SumEjEEDaPvRmT3_T4_T5_mT6_P12ihipStream_tbENKUlT_T0_E_clISt17integral_constantIbLb0EESP_EEDaSK_SL_EUlSK_E0_NS1_11comp_targetILNS1_3genE8ELNS1_11target_archE1030ELNS1_3gpuE2ELNS1_3repE0EEENS1_30default_config_static_selectorELNS0_4arch9wavefront6targetE0EEEvT1_
; %bb.0:
	.section	.rodata,"a",@progbits
	.p2align	6, 0x0
	.amdhsa_kernel _ZN7rocprim17ROCPRIM_400000_NS6detail17trampoline_kernelINS0_14default_configENS1_20scan_config_selectorIjEEZZNS1_9scan_implILNS1_25lookback_scan_determinismE0ELb1ELb1ES3_PjS8_jN6hipcub16HIPCUB_304000_NS3SumEjEEDaPvRmT3_T4_T5_mT6_P12ihipStream_tbENKUlT_T0_E_clISt17integral_constantIbLb0EESP_EEDaSK_SL_EUlSK_E0_NS1_11comp_targetILNS1_3genE8ELNS1_11target_archE1030ELNS1_3gpuE2ELNS1_3repE0EEENS1_30default_config_static_selectorELNS0_4arch9wavefront6targetE0EEEvT1_
		.amdhsa_group_segment_fixed_size 0
		.amdhsa_private_segment_fixed_size 0
		.amdhsa_kernarg_size 32
		.amdhsa_user_sgpr_count 2
		.amdhsa_user_sgpr_dispatch_ptr 0
		.amdhsa_user_sgpr_queue_ptr 0
		.amdhsa_user_sgpr_kernarg_segment_ptr 1
		.amdhsa_user_sgpr_dispatch_id 0
		.amdhsa_user_sgpr_kernarg_preload_length 0
		.amdhsa_user_sgpr_kernarg_preload_offset 0
		.amdhsa_user_sgpr_private_segment_size 0
		.amdhsa_wavefront_size32 1
		.amdhsa_uses_dynamic_stack 0
		.amdhsa_enable_private_segment 0
		.amdhsa_system_sgpr_workgroup_id_x 1
		.amdhsa_system_sgpr_workgroup_id_y 0
		.amdhsa_system_sgpr_workgroup_id_z 0
		.amdhsa_system_sgpr_workgroup_info 0
		.amdhsa_system_vgpr_workitem_id 0
		.amdhsa_next_free_vgpr 1
		.amdhsa_next_free_sgpr 1
		.amdhsa_named_barrier_count 0
		.amdhsa_reserve_vcc 0
		.amdhsa_float_round_mode_32 0
		.amdhsa_float_round_mode_16_64 0
		.amdhsa_float_denorm_mode_32 3
		.amdhsa_float_denorm_mode_16_64 3
		.amdhsa_fp16_overflow 0
		.amdhsa_memory_ordered 1
		.amdhsa_forward_progress 1
		.amdhsa_inst_pref_size 0
		.amdhsa_round_robin_scheduling 0
		.amdhsa_exception_fp_ieee_invalid_op 0
		.amdhsa_exception_fp_denorm_src 0
		.amdhsa_exception_fp_ieee_div_zero 0
		.amdhsa_exception_fp_ieee_overflow 0
		.amdhsa_exception_fp_ieee_underflow 0
		.amdhsa_exception_fp_ieee_inexact 0
		.amdhsa_exception_int_div_zero 0
	.end_amdhsa_kernel
	.section	.text._ZN7rocprim17ROCPRIM_400000_NS6detail17trampoline_kernelINS0_14default_configENS1_20scan_config_selectorIjEEZZNS1_9scan_implILNS1_25lookback_scan_determinismE0ELb1ELb1ES3_PjS8_jN6hipcub16HIPCUB_304000_NS3SumEjEEDaPvRmT3_T4_T5_mT6_P12ihipStream_tbENKUlT_T0_E_clISt17integral_constantIbLb0EESP_EEDaSK_SL_EUlSK_E0_NS1_11comp_targetILNS1_3genE8ELNS1_11target_archE1030ELNS1_3gpuE2ELNS1_3repE0EEENS1_30default_config_static_selectorELNS0_4arch9wavefront6targetE0EEEvT1_,"axG",@progbits,_ZN7rocprim17ROCPRIM_400000_NS6detail17trampoline_kernelINS0_14default_configENS1_20scan_config_selectorIjEEZZNS1_9scan_implILNS1_25lookback_scan_determinismE0ELb1ELb1ES3_PjS8_jN6hipcub16HIPCUB_304000_NS3SumEjEEDaPvRmT3_T4_T5_mT6_P12ihipStream_tbENKUlT_T0_E_clISt17integral_constantIbLb0EESP_EEDaSK_SL_EUlSK_E0_NS1_11comp_targetILNS1_3genE8ELNS1_11target_archE1030ELNS1_3gpuE2ELNS1_3repE0EEENS1_30default_config_static_selectorELNS0_4arch9wavefront6targetE0EEEvT1_,comdat
.Lfunc_end27:
	.size	_ZN7rocprim17ROCPRIM_400000_NS6detail17trampoline_kernelINS0_14default_configENS1_20scan_config_selectorIjEEZZNS1_9scan_implILNS1_25lookback_scan_determinismE0ELb1ELb1ES3_PjS8_jN6hipcub16HIPCUB_304000_NS3SumEjEEDaPvRmT3_T4_T5_mT6_P12ihipStream_tbENKUlT_T0_E_clISt17integral_constantIbLb0EESP_EEDaSK_SL_EUlSK_E0_NS1_11comp_targetILNS1_3genE8ELNS1_11target_archE1030ELNS1_3gpuE2ELNS1_3repE0EEENS1_30default_config_static_selectorELNS0_4arch9wavefront6targetE0EEEvT1_, .Lfunc_end27-_ZN7rocprim17ROCPRIM_400000_NS6detail17trampoline_kernelINS0_14default_configENS1_20scan_config_selectorIjEEZZNS1_9scan_implILNS1_25lookback_scan_determinismE0ELb1ELb1ES3_PjS8_jN6hipcub16HIPCUB_304000_NS3SumEjEEDaPvRmT3_T4_T5_mT6_P12ihipStream_tbENKUlT_T0_E_clISt17integral_constantIbLb0EESP_EEDaSK_SL_EUlSK_E0_NS1_11comp_targetILNS1_3genE8ELNS1_11target_archE1030ELNS1_3gpuE2ELNS1_3repE0EEENS1_30default_config_static_selectorELNS0_4arch9wavefront6targetE0EEEvT1_
                                        ; -- End function
	.set _ZN7rocprim17ROCPRIM_400000_NS6detail17trampoline_kernelINS0_14default_configENS1_20scan_config_selectorIjEEZZNS1_9scan_implILNS1_25lookback_scan_determinismE0ELb1ELb1ES3_PjS8_jN6hipcub16HIPCUB_304000_NS3SumEjEEDaPvRmT3_T4_T5_mT6_P12ihipStream_tbENKUlT_T0_E_clISt17integral_constantIbLb0EESP_EEDaSK_SL_EUlSK_E0_NS1_11comp_targetILNS1_3genE8ELNS1_11target_archE1030ELNS1_3gpuE2ELNS1_3repE0EEENS1_30default_config_static_selectorELNS0_4arch9wavefront6targetE0EEEvT1_.num_vgpr, 0
	.set _ZN7rocprim17ROCPRIM_400000_NS6detail17trampoline_kernelINS0_14default_configENS1_20scan_config_selectorIjEEZZNS1_9scan_implILNS1_25lookback_scan_determinismE0ELb1ELb1ES3_PjS8_jN6hipcub16HIPCUB_304000_NS3SumEjEEDaPvRmT3_T4_T5_mT6_P12ihipStream_tbENKUlT_T0_E_clISt17integral_constantIbLb0EESP_EEDaSK_SL_EUlSK_E0_NS1_11comp_targetILNS1_3genE8ELNS1_11target_archE1030ELNS1_3gpuE2ELNS1_3repE0EEENS1_30default_config_static_selectorELNS0_4arch9wavefront6targetE0EEEvT1_.num_agpr, 0
	.set _ZN7rocprim17ROCPRIM_400000_NS6detail17trampoline_kernelINS0_14default_configENS1_20scan_config_selectorIjEEZZNS1_9scan_implILNS1_25lookback_scan_determinismE0ELb1ELb1ES3_PjS8_jN6hipcub16HIPCUB_304000_NS3SumEjEEDaPvRmT3_T4_T5_mT6_P12ihipStream_tbENKUlT_T0_E_clISt17integral_constantIbLb0EESP_EEDaSK_SL_EUlSK_E0_NS1_11comp_targetILNS1_3genE8ELNS1_11target_archE1030ELNS1_3gpuE2ELNS1_3repE0EEENS1_30default_config_static_selectorELNS0_4arch9wavefront6targetE0EEEvT1_.numbered_sgpr, 0
	.set _ZN7rocprim17ROCPRIM_400000_NS6detail17trampoline_kernelINS0_14default_configENS1_20scan_config_selectorIjEEZZNS1_9scan_implILNS1_25lookback_scan_determinismE0ELb1ELb1ES3_PjS8_jN6hipcub16HIPCUB_304000_NS3SumEjEEDaPvRmT3_T4_T5_mT6_P12ihipStream_tbENKUlT_T0_E_clISt17integral_constantIbLb0EESP_EEDaSK_SL_EUlSK_E0_NS1_11comp_targetILNS1_3genE8ELNS1_11target_archE1030ELNS1_3gpuE2ELNS1_3repE0EEENS1_30default_config_static_selectorELNS0_4arch9wavefront6targetE0EEEvT1_.num_named_barrier, 0
	.set _ZN7rocprim17ROCPRIM_400000_NS6detail17trampoline_kernelINS0_14default_configENS1_20scan_config_selectorIjEEZZNS1_9scan_implILNS1_25lookback_scan_determinismE0ELb1ELb1ES3_PjS8_jN6hipcub16HIPCUB_304000_NS3SumEjEEDaPvRmT3_T4_T5_mT6_P12ihipStream_tbENKUlT_T0_E_clISt17integral_constantIbLb0EESP_EEDaSK_SL_EUlSK_E0_NS1_11comp_targetILNS1_3genE8ELNS1_11target_archE1030ELNS1_3gpuE2ELNS1_3repE0EEENS1_30default_config_static_selectorELNS0_4arch9wavefront6targetE0EEEvT1_.private_seg_size, 0
	.set _ZN7rocprim17ROCPRIM_400000_NS6detail17trampoline_kernelINS0_14default_configENS1_20scan_config_selectorIjEEZZNS1_9scan_implILNS1_25lookback_scan_determinismE0ELb1ELb1ES3_PjS8_jN6hipcub16HIPCUB_304000_NS3SumEjEEDaPvRmT3_T4_T5_mT6_P12ihipStream_tbENKUlT_T0_E_clISt17integral_constantIbLb0EESP_EEDaSK_SL_EUlSK_E0_NS1_11comp_targetILNS1_3genE8ELNS1_11target_archE1030ELNS1_3gpuE2ELNS1_3repE0EEENS1_30default_config_static_selectorELNS0_4arch9wavefront6targetE0EEEvT1_.uses_vcc, 0
	.set _ZN7rocprim17ROCPRIM_400000_NS6detail17trampoline_kernelINS0_14default_configENS1_20scan_config_selectorIjEEZZNS1_9scan_implILNS1_25lookback_scan_determinismE0ELb1ELb1ES3_PjS8_jN6hipcub16HIPCUB_304000_NS3SumEjEEDaPvRmT3_T4_T5_mT6_P12ihipStream_tbENKUlT_T0_E_clISt17integral_constantIbLb0EESP_EEDaSK_SL_EUlSK_E0_NS1_11comp_targetILNS1_3genE8ELNS1_11target_archE1030ELNS1_3gpuE2ELNS1_3repE0EEENS1_30default_config_static_selectorELNS0_4arch9wavefront6targetE0EEEvT1_.uses_flat_scratch, 0
	.set _ZN7rocprim17ROCPRIM_400000_NS6detail17trampoline_kernelINS0_14default_configENS1_20scan_config_selectorIjEEZZNS1_9scan_implILNS1_25lookback_scan_determinismE0ELb1ELb1ES3_PjS8_jN6hipcub16HIPCUB_304000_NS3SumEjEEDaPvRmT3_T4_T5_mT6_P12ihipStream_tbENKUlT_T0_E_clISt17integral_constantIbLb0EESP_EEDaSK_SL_EUlSK_E0_NS1_11comp_targetILNS1_3genE8ELNS1_11target_archE1030ELNS1_3gpuE2ELNS1_3repE0EEENS1_30default_config_static_selectorELNS0_4arch9wavefront6targetE0EEEvT1_.has_dyn_sized_stack, 0
	.set _ZN7rocprim17ROCPRIM_400000_NS6detail17trampoline_kernelINS0_14default_configENS1_20scan_config_selectorIjEEZZNS1_9scan_implILNS1_25lookback_scan_determinismE0ELb1ELb1ES3_PjS8_jN6hipcub16HIPCUB_304000_NS3SumEjEEDaPvRmT3_T4_T5_mT6_P12ihipStream_tbENKUlT_T0_E_clISt17integral_constantIbLb0EESP_EEDaSK_SL_EUlSK_E0_NS1_11comp_targetILNS1_3genE8ELNS1_11target_archE1030ELNS1_3gpuE2ELNS1_3repE0EEENS1_30default_config_static_selectorELNS0_4arch9wavefront6targetE0EEEvT1_.has_recursion, 0
	.set _ZN7rocprim17ROCPRIM_400000_NS6detail17trampoline_kernelINS0_14default_configENS1_20scan_config_selectorIjEEZZNS1_9scan_implILNS1_25lookback_scan_determinismE0ELb1ELb1ES3_PjS8_jN6hipcub16HIPCUB_304000_NS3SumEjEEDaPvRmT3_T4_T5_mT6_P12ihipStream_tbENKUlT_T0_E_clISt17integral_constantIbLb0EESP_EEDaSK_SL_EUlSK_E0_NS1_11comp_targetILNS1_3genE8ELNS1_11target_archE1030ELNS1_3gpuE2ELNS1_3repE0EEENS1_30default_config_static_selectorELNS0_4arch9wavefront6targetE0EEEvT1_.has_indirect_call, 0
	.section	.AMDGPU.csdata,"",@progbits
; Kernel info:
; codeLenInByte = 0
; TotalNumSgprs: 0
; NumVgprs: 0
; ScratchSize: 0
; MemoryBound: 0
; FloatMode: 240
; IeeeMode: 1
; LDSByteSize: 0 bytes/workgroup (compile time only)
; SGPRBlocks: 0
; VGPRBlocks: 0
; NumSGPRsForWavesPerEU: 1
; NumVGPRsForWavesPerEU: 1
; NamedBarCnt: 0
; Occupancy: 16
; WaveLimiterHint : 0
; COMPUTE_PGM_RSRC2:SCRATCH_EN: 0
; COMPUTE_PGM_RSRC2:USER_SGPR: 2
; COMPUTE_PGM_RSRC2:TRAP_HANDLER: 0
; COMPUTE_PGM_RSRC2:TGID_X_EN: 1
; COMPUTE_PGM_RSRC2:TGID_Y_EN: 0
; COMPUTE_PGM_RSRC2:TGID_Z_EN: 0
; COMPUTE_PGM_RSRC2:TIDIG_COMP_CNT: 0
	.section	.text._ZN7rocprim17ROCPRIM_400000_NS6detail31init_lookback_scan_state_kernelINS1_19lookback_scan_stateIjLb1ELb1EEENS1_16block_id_wrapperIjLb1EEEEEvT_jT0_jPNS7_10value_typeE,"axG",@progbits,_ZN7rocprim17ROCPRIM_400000_NS6detail31init_lookback_scan_state_kernelINS1_19lookback_scan_stateIjLb1ELb1EEENS1_16block_id_wrapperIjLb1EEEEEvT_jT0_jPNS7_10value_typeE,comdat
	.protected	_ZN7rocprim17ROCPRIM_400000_NS6detail31init_lookback_scan_state_kernelINS1_19lookback_scan_stateIjLb1ELb1EEENS1_16block_id_wrapperIjLb1EEEEEvT_jT0_jPNS7_10value_typeE ; -- Begin function _ZN7rocprim17ROCPRIM_400000_NS6detail31init_lookback_scan_state_kernelINS1_19lookback_scan_stateIjLb1ELb1EEENS1_16block_id_wrapperIjLb1EEEEEvT_jT0_jPNS7_10value_typeE
	.globl	_ZN7rocprim17ROCPRIM_400000_NS6detail31init_lookback_scan_state_kernelINS1_19lookback_scan_stateIjLb1ELb1EEENS1_16block_id_wrapperIjLb1EEEEEvT_jT0_jPNS7_10value_typeE
	.p2align	8
	.type	_ZN7rocprim17ROCPRIM_400000_NS6detail31init_lookback_scan_state_kernelINS1_19lookback_scan_stateIjLb1ELb1EEENS1_16block_id_wrapperIjLb1EEEEEvT_jT0_jPNS7_10value_typeE,@function
_ZN7rocprim17ROCPRIM_400000_NS6detail31init_lookback_scan_state_kernelINS1_19lookback_scan_stateIjLb1ELb1EEENS1_16block_id_wrapperIjLb1EEEEEvT_jT0_jPNS7_10value_typeE: ; @_ZN7rocprim17ROCPRIM_400000_NS6detail31init_lookback_scan_state_kernelINS1_19lookback_scan_stateIjLb1ELb1EEENS1_16block_id_wrapperIjLb1EEEEEvT_jT0_jPNS7_10value_typeE
; %bb.0:
	s_clause 0x2
	s_load_b32 s7, s[0:1], 0x34
	s_load_b96 s[4:6], s[0:1], 0x0
	s_load_b64 s[2:3], s[0:1], 0x20
	s_bfe_u32 s8, ttmp6, 0x4000c
	s_and_b32 s9, ttmp6, 15
	s_add_co_i32 s8, s8, 1
	s_getreg_b32 s10, hwreg(HW_REG_IB_STS2, 6, 4)
	s_mul_i32 s8, ttmp9, s8
	s_delay_alu instid0(SALU_CYCLE_1)
	s_add_co_i32 s9, s9, s8
	s_wait_kmcnt 0x0
	s_and_b32 s7, s7, 0xffff
	s_cmp_eq_u32 s10, 0
	s_cselect_b32 s8, ttmp9, s9
	s_cmp_eq_u64 s[2:3], 0
	v_mad_u32 v4, s8, s7, v0
	s_cbranch_scc1 .LBB28_9
; %bb.1:
	s_load_b32 s8, s[0:1], 0x18
	s_wait_kmcnt 0x0
	s_cmp_lt_u32 s8, s6
	s_cselect_b32 s7, s8, 0
	s_delay_alu instid0(VALU_DEP_1) | instid1(SALU_CYCLE_1)
	v_cmp_eq_u32_e32 vcc_lo, s7, v4
	s_and_saveexec_b32 s7, vcc_lo
	s_cbranch_execz .LBB28_8
; %bb.2:
	s_add_co_i32 s8, s8, 32
	s_delay_alu instid0(SALU_CYCLE_1)
	v_mov_b32_e32 v0, s8
	global_load_b64 v[2:3], v0, s[4:5] scale_offset scope:SCOPE_DEV
	s_wait_xcnt 0x0
	v_mov_b32_e32 v0, 0
	s_wait_loadcnt 0x0
	v_and_b32_e32 v1, 0xff, v3
	s_delay_alu instid0(VALU_DEP_1)
	v_cmp_ne_u64_e32 vcc_lo, 0, v[0:1]
	s_cbranch_vccnz .LBB28_7
; %bb.3:
	s_mov_b32 s9, 0
	s_mov_b32 s10, 1
	s_lshl_b64 s[8:9], s[8:9], 3
	s_delay_alu instid0(SALU_CYCLE_1)
	s_add_nc_u64 s[8:9], s[4:5], s[8:9]
.LBB28_4:                               ; =>This Loop Header: Depth=1
                                        ;     Child Loop BB28_5 Depth 2
	s_mov_b32 s11, s10
.LBB28_5:                               ;   Parent Loop BB28_4 Depth=1
                                        ; =>  This Inner Loop Header: Depth=2
	s_delay_alu instid0(SALU_CYCLE_1)
	s_add_co_i32 s11, s11, -1
	s_sleep 1
	s_cmp_eq_u32 s11, 0
	s_cbranch_scc0 .LBB28_5
; %bb.6:                                ;   in Loop: Header=BB28_4 Depth=1
	global_load_b64 v[2:3], v0, s[8:9] scope:SCOPE_DEV
	s_cmp_lt_u32 s10, 32
	s_cselect_b32 s11, -1, 0
	s_delay_alu instid0(SALU_CYCLE_1) | instskip(SKIP_3) | instid1(VALU_DEP_1)
	s_cmp_lg_u32 s11, 0
	s_add_co_ci_u32 s10, s10, 0
	s_wait_loadcnt 0x0
	v_and_b32_e32 v1, 0xff, v3
	v_cmp_ne_u64_e32 vcc_lo, 0, v[0:1]
	s_cbranch_vccz .LBB28_4
.LBB28_7:
	v_mov_b32_e32 v0, 0
	global_store_b32 v0, v2, s[2:3]
.LBB28_8:
	s_wait_xcnt 0x0
	s_or_b32 exec_lo, exec_lo, s7
.LBB28_9:
	s_delay_alu instid0(SALU_CYCLE_1) | instskip(NEXT) | instid1(VALU_DEP_1)
	s_mov_b32 s2, exec_lo
	v_cmpx_eq_u32_e32 0, v4
	s_cbranch_execz .LBB28_11
; %bb.10:
	s_load_b64 s[0:1], s[0:1], 0x10
	v_mov_b32_e32 v0, 0
	s_wait_kmcnt 0x0
	global_store_b32 v0, v0, s[0:1]
.LBB28_11:
	s_wait_xcnt 0x0
	s_or_b32 exec_lo, exec_lo, s2
	s_delay_alu instid0(SALU_CYCLE_1)
	s_mov_b32 s0, exec_lo
	v_cmpx_gt_u32_e64 s6, v4
	s_cbranch_execz .LBB28_13
; %bb.12:
	v_mov_b64_e32 v[0:1], 0
	v_add_nc_u32_e32 v2, 32, v4
	global_store_b64 v2, v[0:1], s[4:5] scale_offset
.LBB28_13:
	s_wait_xcnt 0x0
	s_or_b32 exec_lo, exec_lo, s0
	s_delay_alu instid0(SALU_CYCLE_1)
	s_mov_b32 s0, exec_lo
	v_cmpx_gt_u32_e32 32, v4
	s_cbranch_execz .LBB28_15
; %bb.14:
	v_mov_b64_e32 v[0:1], 0xff00000000
	global_store_b64 v4, v[0:1], s[4:5] scale_offset
.LBB28_15:
	s_endpgm
	.section	.rodata,"a",@progbits
	.p2align	6, 0x0
	.amdhsa_kernel _ZN7rocprim17ROCPRIM_400000_NS6detail31init_lookback_scan_state_kernelINS1_19lookback_scan_stateIjLb1ELb1EEENS1_16block_id_wrapperIjLb1EEEEEvT_jT0_jPNS7_10value_typeE
		.amdhsa_group_segment_fixed_size 0
		.amdhsa_private_segment_fixed_size 0
		.amdhsa_kernarg_size 296
		.amdhsa_user_sgpr_count 2
		.amdhsa_user_sgpr_dispatch_ptr 0
		.amdhsa_user_sgpr_queue_ptr 0
		.amdhsa_user_sgpr_kernarg_segment_ptr 1
		.amdhsa_user_sgpr_dispatch_id 0
		.amdhsa_user_sgpr_kernarg_preload_length 0
		.amdhsa_user_sgpr_kernarg_preload_offset 0
		.amdhsa_user_sgpr_private_segment_size 0
		.amdhsa_wavefront_size32 1
		.amdhsa_uses_dynamic_stack 0
		.amdhsa_enable_private_segment 0
		.amdhsa_system_sgpr_workgroup_id_x 1
		.amdhsa_system_sgpr_workgroup_id_y 0
		.amdhsa_system_sgpr_workgroup_id_z 0
		.amdhsa_system_sgpr_workgroup_info 0
		.amdhsa_system_vgpr_workitem_id 0
		.amdhsa_next_free_vgpr 5
		.amdhsa_next_free_sgpr 12
		.amdhsa_named_barrier_count 0
		.amdhsa_reserve_vcc 1
		.amdhsa_float_round_mode_32 0
		.amdhsa_float_round_mode_16_64 0
		.amdhsa_float_denorm_mode_32 3
		.amdhsa_float_denorm_mode_16_64 3
		.amdhsa_fp16_overflow 0
		.amdhsa_memory_ordered 1
		.amdhsa_forward_progress 1
		.amdhsa_inst_pref_size 4
		.amdhsa_round_robin_scheduling 0
		.amdhsa_exception_fp_ieee_invalid_op 0
		.amdhsa_exception_fp_denorm_src 0
		.amdhsa_exception_fp_ieee_div_zero 0
		.amdhsa_exception_fp_ieee_overflow 0
		.amdhsa_exception_fp_ieee_underflow 0
		.amdhsa_exception_fp_ieee_inexact 0
		.amdhsa_exception_int_div_zero 0
	.end_amdhsa_kernel
	.section	.text._ZN7rocprim17ROCPRIM_400000_NS6detail31init_lookback_scan_state_kernelINS1_19lookback_scan_stateIjLb1ELb1EEENS1_16block_id_wrapperIjLb1EEEEEvT_jT0_jPNS7_10value_typeE,"axG",@progbits,_ZN7rocprim17ROCPRIM_400000_NS6detail31init_lookback_scan_state_kernelINS1_19lookback_scan_stateIjLb1ELb1EEENS1_16block_id_wrapperIjLb1EEEEEvT_jT0_jPNS7_10value_typeE,comdat
.Lfunc_end28:
	.size	_ZN7rocprim17ROCPRIM_400000_NS6detail31init_lookback_scan_state_kernelINS1_19lookback_scan_stateIjLb1ELb1EEENS1_16block_id_wrapperIjLb1EEEEEvT_jT0_jPNS7_10value_typeE, .Lfunc_end28-_ZN7rocprim17ROCPRIM_400000_NS6detail31init_lookback_scan_state_kernelINS1_19lookback_scan_stateIjLb1ELb1EEENS1_16block_id_wrapperIjLb1EEEEEvT_jT0_jPNS7_10value_typeE
                                        ; -- End function
	.set _ZN7rocprim17ROCPRIM_400000_NS6detail31init_lookback_scan_state_kernelINS1_19lookback_scan_stateIjLb1ELb1EEENS1_16block_id_wrapperIjLb1EEEEEvT_jT0_jPNS7_10value_typeE.num_vgpr, 5
	.set _ZN7rocprim17ROCPRIM_400000_NS6detail31init_lookback_scan_state_kernelINS1_19lookback_scan_stateIjLb1ELb1EEENS1_16block_id_wrapperIjLb1EEEEEvT_jT0_jPNS7_10value_typeE.num_agpr, 0
	.set _ZN7rocprim17ROCPRIM_400000_NS6detail31init_lookback_scan_state_kernelINS1_19lookback_scan_stateIjLb1ELb1EEENS1_16block_id_wrapperIjLb1EEEEEvT_jT0_jPNS7_10value_typeE.numbered_sgpr, 12
	.set _ZN7rocprim17ROCPRIM_400000_NS6detail31init_lookback_scan_state_kernelINS1_19lookback_scan_stateIjLb1ELb1EEENS1_16block_id_wrapperIjLb1EEEEEvT_jT0_jPNS7_10value_typeE.num_named_barrier, 0
	.set _ZN7rocprim17ROCPRIM_400000_NS6detail31init_lookback_scan_state_kernelINS1_19lookback_scan_stateIjLb1ELb1EEENS1_16block_id_wrapperIjLb1EEEEEvT_jT0_jPNS7_10value_typeE.private_seg_size, 0
	.set _ZN7rocprim17ROCPRIM_400000_NS6detail31init_lookback_scan_state_kernelINS1_19lookback_scan_stateIjLb1ELb1EEENS1_16block_id_wrapperIjLb1EEEEEvT_jT0_jPNS7_10value_typeE.uses_vcc, 1
	.set _ZN7rocprim17ROCPRIM_400000_NS6detail31init_lookback_scan_state_kernelINS1_19lookback_scan_stateIjLb1ELb1EEENS1_16block_id_wrapperIjLb1EEEEEvT_jT0_jPNS7_10value_typeE.uses_flat_scratch, 0
	.set _ZN7rocprim17ROCPRIM_400000_NS6detail31init_lookback_scan_state_kernelINS1_19lookback_scan_stateIjLb1ELb1EEENS1_16block_id_wrapperIjLb1EEEEEvT_jT0_jPNS7_10value_typeE.has_dyn_sized_stack, 0
	.set _ZN7rocprim17ROCPRIM_400000_NS6detail31init_lookback_scan_state_kernelINS1_19lookback_scan_stateIjLb1ELb1EEENS1_16block_id_wrapperIjLb1EEEEEvT_jT0_jPNS7_10value_typeE.has_recursion, 0
	.set _ZN7rocprim17ROCPRIM_400000_NS6detail31init_lookback_scan_state_kernelINS1_19lookback_scan_stateIjLb1ELb1EEENS1_16block_id_wrapperIjLb1EEEEEvT_jT0_jPNS7_10value_typeE.has_indirect_call, 0
	.section	.AMDGPU.csdata,"",@progbits
; Kernel info:
; codeLenInByte = 452
; TotalNumSgprs: 14
; NumVgprs: 5
; ScratchSize: 0
; MemoryBound: 0
; FloatMode: 240
; IeeeMode: 1
; LDSByteSize: 0 bytes/workgroup (compile time only)
; SGPRBlocks: 0
; VGPRBlocks: 0
; NumSGPRsForWavesPerEU: 14
; NumVGPRsForWavesPerEU: 5
; NamedBarCnt: 0
; Occupancy: 16
; WaveLimiterHint : 0
; COMPUTE_PGM_RSRC2:SCRATCH_EN: 0
; COMPUTE_PGM_RSRC2:USER_SGPR: 2
; COMPUTE_PGM_RSRC2:TRAP_HANDLER: 0
; COMPUTE_PGM_RSRC2:TGID_X_EN: 1
; COMPUTE_PGM_RSRC2:TGID_Y_EN: 0
; COMPUTE_PGM_RSRC2:TGID_Z_EN: 0
; COMPUTE_PGM_RSRC2:TIDIG_COMP_CNT: 0
	.section	.text._ZN7rocprim17ROCPRIM_400000_NS6detail17trampoline_kernelINS0_14default_configENS1_20scan_config_selectorIjEEZZNS1_9scan_implILNS1_25lookback_scan_determinismE0ELb1ELb1ES3_PjS8_jN6hipcub16HIPCUB_304000_NS3SumEjEEDaPvRmT3_T4_T5_mT6_P12ihipStream_tbENKUlT_T0_E_clISt17integral_constantIbLb1EESP_EEDaSK_SL_EUlSK_E_NS1_11comp_targetILNS1_3genE0ELNS1_11target_archE4294967295ELNS1_3gpuE0ELNS1_3repE0EEENS1_30default_config_static_selectorELNS0_4arch9wavefront6targetE0EEEvT1_,"axG",@progbits,_ZN7rocprim17ROCPRIM_400000_NS6detail17trampoline_kernelINS0_14default_configENS1_20scan_config_selectorIjEEZZNS1_9scan_implILNS1_25lookback_scan_determinismE0ELb1ELb1ES3_PjS8_jN6hipcub16HIPCUB_304000_NS3SumEjEEDaPvRmT3_T4_T5_mT6_P12ihipStream_tbENKUlT_T0_E_clISt17integral_constantIbLb1EESP_EEDaSK_SL_EUlSK_E_NS1_11comp_targetILNS1_3genE0ELNS1_11target_archE4294967295ELNS1_3gpuE0ELNS1_3repE0EEENS1_30default_config_static_selectorELNS0_4arch9wavefront6targetE0EEEvT1_,comdat
	.protected	_ZN7rocprim17ROCPRIM_400000_NS6detail17trampoline_kernelINS0_14default_configENS1_20scan_config_selectorIjEEZZNS1_9scan_implILNS1_25lookback_scan_determinismE0ELb1ELb1ES3_PjS8_jN6hipcub16HIPCUB_304000_NS3SumEjEEDaPvRmT3_T4_T5_mT6_P12ihipStream_tbENKUlT_T0_E_clISt17integral_constantIbLb1EESP_EEDaSK_SL_EUlSK_E_NS1_11comp_targetILNS1_3genE0ELNS1_11target_archE4294967295ELNS1_3gpuE0ELNS1_3repE0EEENS1_30default_config_static_selectorELNS0_4arch9wavefront6targetE0EEEvT1_ ; -- Begin function _ZN7rocprim17ROCPRIM_400000_NS6detail17trampoline_kernelINS0_14default_configENS1_20scan_config_selectorIjEEZZNS1_9scan_implILNS1_25lookback_scan_determinismE0ELb1ELb1ES3_PjS8_jN6hipcub16HIPCUB_304000_NS3SumEjEEDaPvRmT3_T4_T5_mT6_P12ihipStream_tbENKUlT_T0_E_clISt17integral_constantIbLb1EESP_EEDaSK_SL_EUlSK_E_NS1_11comp_targetILNS1_3genE0ELNS1_11target_archE4294967295ELNS1_3gpuE0ELNS1_3repE0EEENS1_30default_config_static_selectorELNS0_4arch9wavefront6targetE0EEEvT1_
	.globl	_ZN7rocprim17ROCPRIM_400000_NS6detail17trampoline_kernelINS0_14default_configENS1_20scan_config_selectorIjEEZZNS1_9scan_implILNS1_25lookback_scan_determinismE0ELb1ELb1ES3_PjS8_jN6hipcub16HIPCUB_304000_NS3SumEjEEDaPvRmT3_T4_T5_mT6_P12ihipStream_tbENKUlT_T0_E_clISt17integral_constantIbLb1EESP_EEDaSK_SL_EUlSK_E_NS1_11comp_targetILNS1_3genE0ELNS1_11target_archE4294967295ELNS1_3gpuE0ELNS1_3repE0EEENS1_30default_config_static_selectorELNS0_4arch9wavefront6targetE0EEEvT1_
	.p2align	8
	.type	_ZN7rocprim17ROCPRIM_400000_NS6detail17trampoline_kernelINS0_14default_configENS1_20scan_config_selectorIjEEZZNS1_9scan_implILNS1_25lookback_scan_determinismE0ELb1ELb1ES3_PjS8_jN6hipcub16HIPCUB_304000_NS3SumEjEEDaPvRmT3_T4_T5_mT6_P12ihipStream_tbENKUlT_T0_E_clISt17integral_constantIbLb1EESP_EEDaSK_SL_EUlSK_E_NS1_11comp_targetILNS1_3genE0ELNS1_11target_archE4294967295ELNS1_3gpuE0ELNS1_3repE0EEENS1_30default_config_static_selectorELNS0_4arch9wavefront6targetE0EEEvT1_,@function
_ZN7rocprim17ROCPRIM_400000_NS6detail17trampoline_kernelINS0_14default_configENS1_20scan_config_selectorIjEEZZNS1_9scan_implILNS1_25lookback_scan_determinismE0ELb1ELb1ES3_PjS8_jN6hipcub16HIPCUB_304000_NS3SumEjEEDaPvRmT3_T4_T5_mT6_P12ihipStream_tbENKUlT_T0_E_clISt17integral_constantIbLb1EESP_EEDaSK_SL_EUlSK_E_NS1_11comp_targetILNS1_3genE0ELNS1_11target_archE4294967295ELNS1_3gpuE0ELNS1_3repE0EEENS1_30default_config_static_selectorELNS0_4arch9wavefront6targetE0EEEvT1_: ; @_ZN7rocprim17ROCPRIM_400000_NS6detail17trampoline_kernelINS0_14default_configENS1_20scan_config_selectorIjEEZZNS1_9scan_implILNS1_25lookback_scan_determinismE0ELb1ELb1ES3_PjS8_jN6hipcub16HIPCUB_304000_NS3SumEjEEDaPvRmT3_T4_T5_mT6_P12ihipStream_tbENKUlT_T0_E_clISt17integral_constantIbLb1EESP_EEDaSK_SL_EUlSK_E_NS1_11comp_targetILNS1_3genE0ELNS1_11target_archE4294967295ELNS1_3gpuE0ELNS1_3repE0EEENS1_30default_config_static_selectorELNS0_4arch9wavefront6targetE0EEEvT1_
; %bb.0:
	s_endpgm
	.section	.rodata,"a",@progbits
	.p2align	6, 0x0
	.amdhsa_kernel _ZN7rocprim17ROCPRIM_400000_NS6detail17trampoline_kernelINS0_14default_configENS1_20scan_config_selectorIjEEZZNS1_9scan_implILNS1_25lookback_scan_determinismE0ELb1ELb1ES3_PjS8_jN6hipcub16HIPCUB_304000_NS3SumEjEEDaPvRmT3_T4_T5_mT6_P12ihipStream_tbENKUlT_T0_E_clISt17integral_constantIbLb1EESP_EEDaSK_SL_EUlSK_E_NS1_11comp_targetILNS1_3genE0ELNS1_11target_archE4294967295ELNS1_3gpuE0ELNS1_3repE0EEENS1_30default_config_static_selectorELNS0_4arch9wavefront6targetE0EEEvT1_
		.amdhsa_group_segment_fixed_size 0
		.amdhsa_private_segment_fixed_size 0
		.amdhsa_kernarg_size 96
		.amdhsa_user_sgpr_count 2
		.amdhsa_user_sgpr_dispatch_ptr 0
		.amdhsa_user_sgpr_queue_ptr 0
		.amdhsa_user_sgpr_kernarg_segment_ptr 1
		.amdhsa_user_sgpr_dispatch_id 0
		.amdhsa_user_sgpr_kernarg_preload_length 0
		.amdhsa_user_sgpr_kernarg_preload_offset 0
		.amdhsa_user_sgpr_private_segment_size 0
		.amdhsa_wavefront_size32 1
		.amdhsa_uses_dynamic_stack 0
		.amdhsa_enable_private_segment 0
		.amdhsa_system_sgpr_workgroup_id_x 1
		.amdhsa_system_sgpr_workgroup_id_y 0
		.amdhsa_system_sgpr_workgroup_id_z 0
		.amdhsa_system_sgpr_workgroup_info 0
		.amdhsa_system_vgpr_workitem_id 0
		.amdhsa_next_free_vgpr 1
		.amdhsa_next_free_sgpr 1
		.amdhsa_named_barrier_count 0
		.amdhsa_reserve_vcc 0
		.amdhsa_float_round_mode_32 0
		.amdhsa_float_round_mode_16_64 0
		.amdhsa_float_denorm_mode_32 3
		.amdhsa_float_denorm_mode_16_64 3
		.amdhsa_fp16_overflow 0
		.amdhsa_memory_ordered 1
		.amdhsa_forward_progress 1
		.amdhsa_inst_pref_size 1
		.amdhsa_round_robin_scheduling 0
		.amdhsa_exception_fp_ieee_invalid_op 0
		.amdhsa_exception_fp_denorm_src 0
		.amdhsa_exception_fp_ieee_div_zero 0
		.amdhsa_exception_fp_ieee_overflow 0
		.amdhsa_exception_fp_ieee_underflow 0
		.amdhsa_exception_fp_ieee_inexact 0
		.amdhsa_exception_int_div_zero 0
	.end_amdhsa_kernel
	.section	.text._ZN7rocprim17ROCPRIM_400000_NS6detail17trampoline_kernelINS0_14default_configENS1_20scan_config_selectorIjEEZZNS1_9scan_implILNS1_25lookback_scan_determinismE0ELb1ELb1ES3_PjS8_jN6hipcub16HIPCUB_304000_NS3SumEjEEDaPvRmT3_T4_T5_mT6_P12ihipStream_tbENKUlT_T0_E_clISt17integral_constantIbLb1EESP_EEDaSK_SL_EUlSK_E_NS1_11comp_targetILNS1_3genE0ELNS1_11target_archE4294967295ELNS1_3gpuE0ELNS1_3repE0EEENS1_30default_config_static_selectorELNS0_4arch9wavefront6targetE0EEEvT1_,"axG",@progbits,_ZN7rocprim17ROCPRIM_400000_NS6detail17trampoline_kernelINS0_14default_configENS1_20scan_config_selectorIjEEZZNS1_9scan_implILNS1_25lookback_scan_determinismE0ELb1ELb1ES3_PjS8_jN6hipcub16HIPCUB_304000_NS3SumEjEEDaPvRmT3_T4_T5_mT6_P12ihipStream_tbENKUlT_T0_E_clISt17integral_constantIbLb1EESP_EEDaSK_SL_EUlSK_E_NS1_11comp_targetILNS1_3genE0ELNS1_11target_archE4294967295ELNS1_3gpuE0ELNS1_3repE0EEENS1_30default_config_static_selectorELNS0_4arch9wavefront6targetE0EEEvT1_,comdat
.Lfunc_end29:
	.size	_ZN7rocprim17ROCPRIM_400000_NS6detail17trampoline_kernelINS0_14default_configENS1_20scan_config_selectorIjEEZZNS1_9scan_implILNS1_25lookback_scan_determinismE0ELb1ELb1ES3_PjS8_jN6hipcub16HIPCUB_304000_NS3SumEjEEDaPvRmT3_T4_T5_mT6_P12ihipStream_tbENKUlT_T0_E_clISt17integral_constantIbLb1EESP_EEDaSK_SL_EUlSK_E_NS1_11comp_targetILNS1_3genE0ELNS1_11target_archE4294967295ELNS1_3gpuE0ELNS1_3repE0EEENS1_30default_config_static_selectorELNS0_4arch9wavefront6targetE0EEEvT1_, .Lfunc_end29-_ZN7rocprim17ROCPRIM_400000_NS6detail17trampoline_kernelINS0_14default_configENS1_20scan_config_selectorIjEEZZNS1_9scan_implILNS1_25lookback_scan_determinismE0ELb1ELb1ES3_PjS8_jN6hipcub16HIPCUB_304000_NS3SumEjEEDaPvRmT3_T4_T5_mT6_P12ihipStream_tbENKUlT_T0_E_clISt17integral_constantIbLb1EESP_EEDaSK_SL_EUlSK_E_NS1_11comp_targetILNS1_3genE0ELNS1_11target_archE4294967295ELNS1_3gpuE0ELNS1_3repE0EEENS1_30default_config_static_selectorELNS0_4arch9wavefront6targetE0EEEvT1_
                                        ; -- End function
	.set _ZN7rocprim17ROCPRIM_400000_NS6detail17trampoline_kernelINS0_14default_configENS1_20scan_config_selectorIjEEZZNS1_9scan_implILNS1_25lookback_scan_determinismE0ELb1ELb1ES3_PjS8_jN6hipcub16HIPCUB_304000_NS3SumEjEEDaPvRmT3_T4_T5_mT6_P12ihipStream_tbENKUlT_T0_E_clISt17integral_constantIbLb1EESP_EEDaSK_SL_EUlSK_E_NS1_11comp_targetILNS1_3genE0ELNS1_11target_archE4294967295ELNS1_3gpuE0ELNS1_3repE0EEENS1_30default_config_static_selectorELNS0_4arch9wavefront6targetE0EEEvT1_.num_vgpr, 0
	.set _ZN7rocprim17ROCPRIM_400000_NS6detail17trampoline_kernelINS0_14default_configENS1_20scan_config_selectorIjEEZZNS1_9scan_implILNS1_25lookback_scan_determinismE0ELb1ELb1ES3_PjS8_jN6hipcub16HIPCUB_304000_NS3SumEjEEDaPvRmT3_T4_T5_mT6_P12ihipStream_tbENKUlT_T0_E_clISt17integral_constantIbLb1EESP_EEDaSK_SL_EUlSK_E_NS1_11comp_targetILNS1_3genE0ELNS1_11target_archE4294967295ELNS1_3gpuE0ELNS1_3repE0EEENS1_30default_config_static_selectorELNS0_4arch9wavefront6targetE0EEEvT1_.num_agpr, 0
	.set _ZN7rocprim17ROCPRIM_400000_NS6detail17trampoline_kernelINS0_14default_configENS1_20scan_config_selectorIjEEZZNS1_9scan_implILNS1_25lookback_scan_determinismE0ELb1ELb1ES3_PjS8_jN6hipcub16HIPCUB_304000_NS3SumEjEEDaPvRmT3_T4_T5_mT6_P12ihipStream_tbENKUlT_T0_E_clISt17integral_constantIbLb1EESP_EEDaSK_SL_EUlSK_E_NS1_11comp_targetILNS1_3genE0ELNS1_11target_archE4294967295ELNS1_3gpuE0ELNS1_3repE0EEENS1_30default_config_static_selectorELNS0_4arch9wavefront6targetE0EEEvT1_.numbered_sgpr, 0
	.set _ZN7rocprim17ROCPRIM_400000_NS6detail17trampoline_kernelINS0_14default_configENS1_20scan_config_selectorIjEEZZNS1_9scan_implILNS1_25lookback_scan_determinismE0ELb1ELb1ES3_PjS8_jN6hipcub16HIPCUB_304000_NS3SumEjEEDaPvRmT3_T4_T5_mT6_P12ihipStream_tbENKUlT_T0_E_clISt17integral_constantIbLb1EESP_EEDaSK_SL_EUlSK_E_NS1_11comp_targetILNS1_3genE0ELNS1_11target_archE4294967295ELNS1_3gpuE0ELNS1_3repE0EEENS1_30default_config_static_selectorELNS0_4arch9wavefront6targetE0EEEvT1_.num_named_barrier, 0
	.set _ZN7rocprim17ROCPRIM_400000_NS6detail17trampoline_kernelINS0_14default_configENS1_20scan_config_selectorIjEEZZNS1_9scan_implILNS1_25lookback_scan_determinismE0ELb1ELb1ES3_PjS8_jN6hipcub16HIPCUB_304000_NS3SumEjEEDaPvRmT3_T4_T5_mT6_P12ihipStream_tbENKUlT_T0_E_clISt17integral_constantIbLb1EESP_EEDaSK_SL_EUlSK_E_NS1_11comp_targetILNS1_3genE0ELNS1_11target_archE4294967295ELNS1_3gpuE0ELNS1_3repE0EEENS1_30default_config_static_selectorELNS0_4arch9wavefront6targetE0EEEvT1_.private_seg_size, 0
	.set _ZN7rocprim17ROCPRIM_400000_NS6detail17trampoline_kernelINS0_14default_configENS1_20scan_config_selectorIjEEZZNS1_9scan_implILNS1_25lookback_scan_determinismE0ELb1ELb1ES3_PjS8_jN6hipcub16HIPCUB_304000_NS3SumEjEEDaPvRmT3_T4_T5_mT6_P12ihipStream_tbENKUlT_T0_E_clISt17integral_constantIbLb1EESP_EEDaSK_SL_EUlSK_E_NS1_11comp_targetILNS1_3genE0ELNS1_11target_archE4294967295ELNS1_3gpuE0ELNS1_3repE0EEENS1_30default_config_static_selectorELNS0_4arch9wavefront6targetE0EEEvT1_.uses_vcc, 0
	.set _ZN7rocprim17ROCPRIM_400000_NS6detail17trampoline_kernelINS0_14default_configENS1_20scan_config_selectorIjEEZZNS1_9scan_implILNS1_25lookback_scan_determinismE0ELb1ELb1ES3_PjS8_jN6hipcub16HIPCUB_304000_NS3SumEjEEDaPvRmT3_T4_T5_mT6_P12ihipStream_tbENKUlT_T0_E_clISt17integral_constantIbLb1EESP_EEDaSK_SL_EUlSK_E_NS1_11comp_targetILNS1_3genE0ELNS1_11target_archE4294967295ELNS1_3gpuE0ELNS1_3repE0EEENS1_30default_config_static_selectorELNS0_4arch9wavefront6targetE0EEEvT1_.uses_flat_scratch, 0
	.set _ZN7rocprim17ROCPRIM_400000_NS6detail17trampoline_kernelINS0_14default_configENS1_20scan_config_selectorIjEEZZNS1_9scan_implILNS1_25lookback_scan_determinismE0ELb1ELb1ES3_PjS8_jN6hipcub16HIPCUB_304000_NS3SumEjEEDaPvRmT3_T4_T5_mT6_P12ihipStream_tbENKUlT_T0_E_clISt17integral_constantIbLb1EESP_EEDaSK_SL_EUlSK_E_NS1_11comp_targetILNS1_3genE0ELNS1_11target_archE4294967295ELNS1_3gpuE0ELNS1_3repE0EEENS1_30default_config_static_selectorELNS0_4arch9wavefront6targetE0EEEvT1_.has_dyn_sized_stack, 0
	.set _ZN7rocprim17ROCPRIM_400000_NS6detail17trampoline_kernelINS0_14default_configENS1_20scan_config_selectorIjEEZZNS1_9scan_implILNS1_25lookback_scan_determinismE0ELb1ELb1ES3_PjS8_jN6hipcub16HIPCUB_304000_NS3SumEjEEDaPvRmT3_T4_T5_mT6_P12ihipStream_tbENKUlT_T0_E_clISt17integral_constantIbLb1EESP_EEDaSK_SL_EUlSK_E_NS1_11comp_targetILNS1_3genE0ELNS1_11target_archE4294967295ELNS1_3gpuE0ELNS1_3repE0EEENS1_30default_config_static_selectorELNS0_4arch9wavefront6targetE0EEEvT1_.has_recursion, 0
	.set _ZN7rocprim17ROCPRIM_400000_NS6detail17trampoline_kernelINS0_14default_configENS1_20scan_config_selectorIjEEZZNS1_9scan_implILNS1_25lookback_scan_determinismE0ELb1ELb1ES3_PjS8_jN6hipcub16HIPCUB_304000_NS3SumEjEEDaPvRmT3_T4_T5_mT6_P12ihipStream_tbENKUlT_T0_E_clISt17integral_constantIbLb1EESP_EEDaSK_SL_EUlSK_E_NS1_11comp_targetILNS1_3genE0ELNS1_11target_archE4294967295ELNS1_3gpuE0ELNS1_3repE0EEENS1_30default_config_static_selectorELNS0_4arch9wavefront6targetE0EEEvT1_.has_indirect_call, 0
	.section	.AMDGPU.csdata,"",@progbits
; Kernel info:
; codeLenInByte = 4
; TotalNumSgprs: 0
; NumVgprs: 0
; ScratchSize: 0
; MemoryBound: 0
; FloatMode: 240
; IeeeMode: 1
; LDSByteSize: 0 bytes/workgroup (compile time only)
; SGPRBlocks: 0
; VGPRBlocks: 0
; NumSGPRsForWavesPerEU: 1
; NumVGPRsForWavesPerEU: 1
; NamedBarCnt: 0
; Occupancy: 16
; WaveLimiterHint : 0
; COMPUTE_PGM_RSRC2:SCRATCH_EN: 0
; COMPUTE_PGM_RSRC2:USER_SGPR: 2
; COMPUTE_PGM_RSRC2:TRAP_HANDLER: 0
; COMPUTE_PGM_RSRC2:TGID_X_EN: 1
; COMPUTE_PGM_RSRC2:TGID_Y_EN: 0
; COMPUTE_PGM_RSRC2:TGID_Z_EN: 0
; COMPUTE_PGM_RSRC2:TIDIG_COMP_CNT: 0
	.section	.text._ZN7rocprim17ROCPRIM_400000_NS6detail17trampoline_kernelINS0_14default_configENS1_20scan_config_selectorIjEEZZNS1_9scan_implILNS1_25lookback_scan_determinismE0ELb1ELb1ES3_PjS8_jN6hipcub16HIPCUB_304000_NS3SumEjEEDaPvRmT3_T4_T5_mT6_P12ihipStream_tbENKUlT_T0_E_clISt17integral_constantIbLb1EESP_EEDaSK_SL_EUlSK_E_NS1_11comp_targetILNS1_3genE5ELNS1_11target_archE942ELNS1_3gpuE9ELNS1_3repE0EEENS1_30default_config_static_selectorELNS0_4arch9wavefront6targetE0EEEvT1_,"axG",@progbits,_ZN7rocprim17ROCPRIM_400000_NS6detail17trampoline_kernelINS0_14default_configENS1_20scan_config_selectorIjEEZZNS1_9scan_implILNS1_25lookback_scan_determinismE0ELb1ELb1ES3_PjS8_jN6hipcub16HIPCUB_304000_NS3SumEjEEDaPvRmT3_T4_T5_mT6_P12ihipStream_tbENKUlT_T0_E_clISt17integral_constantIbLb1EESP_EEDaSK_SL_EUlSK_E_NS1_11comp_targetILNS1_3genE5ELNS1_11target_archE942ELNS1_3gpuE9ELNS1_3repE0EEENS1_30default_config_static_selectorELNS0_4arch9wavefront6targetE0EEEvT1_,comdat
	.protected	_ZN7rocprim17ROCPRIM_400000_NS6detail17trampoline_kernelINS0_14default_configENS1_20scan_config_selectorIjEEZZNS1_9scan_implILNS1_25lookback_scan_determinismE0ELb1ELb1ES3_PjS8_jN6hipcub16HIPCUB_304000_NS3SumEjEEDaPvRmT3_T4_T5_mT6_P12ihipStream_tbENKUlT_T0_E_clISt17integral_constantIbLb1EESP_EEDaSK_SL_EUlSK_E_NS1_11comp_targetILNS1_3genE5ELNS1_11target_archE942ELNS1_3gpuE9ELNS1_3repE0EEENS1_30default_config_static_selectorELNS0_4arch9wavefront6targetE0EEEvT1_ ; -- Begin function _ZN7rocprim17ROCPRIM_400000_NS6detail17trampoline_kernelINS0_14default_configENS1_20scan_config_selectorIjEEZZNS1_9scan_implILNS1_25lookback_scan_determinismE0ELb1ELb1ES3_PjS8_jN6hipcub16HIPCUB_304000_NS3SumEjEEDaPvRmT3_T4_T5_mT6_P12ihipStream_tbENKUlT_T0_E_clISt17integral_constantIbLb1EESP_EEDaSK_SL_EUlSK_E_NS1_11comp_targetILNS1_3genE5ELNS1_11target_archE942ELNS1_3gpuE9ELNS1_3repE0EEENS1_30default_config_static_selectorELNS0_4arch9wavefront6targetE0EEEvT1_
	.globl	_ZN7rocprim17ROCPRIM_400000_NS6detail17trampoline_kernelINS0_14default_configENS1_20scan_config_selectorIjEEZZNS1_9scan_implILNS1_25lookback_scan_determinismE0ELb1ELb1ES3_PjS8_jN6hipcub16HIPCUB_304000_NS3SumEjEEDaPvRmT3_T4_T5_mT6_P12ihipStream_tbENKUlT_T0_E_clISt17integral_constantIbLb1EESP_EEDaSK_SL_EUlSK_E_NS1_11comp_targetILNS1_3genE5ELNS1_11target_archE942ELNS1_3gpuE9ELNS1_3repE0EEENS1_30default_config_static_selectorELNS0_4arch9wavefront6targetE0EEEvT1_
	.p2align	8
	.type	_ZN7rocprim17ROCPRIM_400000_NS6detail17trampoline_kernelINS0_14default_configENS1_20scan_config_selectorIjEEZZNS1_9scan_implILNS1_25lookback_scan_determinismE0ELb1ELb1ES3_PjS8_jN6hipcub16HIPCUB_304000_NS3SumEjEEDaPvRmT3_T4_T5_mT6_P12ihipStream_tbENKUlT_T0_E_clISt17integral_constantIbLb1EESP_EEDaSK_SL_EUlSK_E_NS1_11comp_targetILNS1_3genE5ELNS1_11target_archE942ELNS1_3gpuE9ELNS1_3repE0EEENS1_30default_config_static_selectorELNS0_4arch9wavefront6targetE0EEEvT1_,@function
_ZN7rocprim17ROCPRIM_400000_NS6detail17trampoline_kernelINS0_14default_configENS1_20scan_config_selectorIjEEZZNS1_9scan_implILNS1_25lookback_scan_determinismE0ELb1ELb1ES3_PjS8_jN6hipcub16HIPCUB_304000_NS3SumEjEEDaPvRmT3_T4_T5_mT6_P12ihipStream_tbENKUlT_T0_E_clISt17integral_constantIbLb1EESP_EEDaSK_SL_EUlSK_E_NS1_11comp_targetILNS1_3genE5ELNS1_11target_archE942ELNS1_3gpuE9ELNS1_3repE0EEENS1_30default_config_static_selectorELNS0_4arch9wavefront6targetE0EEEvT1_: ; @_ZN7rocprim17ROCPRIM_400000_NS6detail17trampoline_kernelINS0_14default_configENS1_20scan_config_selectorIjEEZZNS1_9scan_implILNS1_25lookback_scan_determinismE0ELb1ELb1ES3_PjS8_jN6hipcub16HIPCUB_304000_NS3SumEjEEDaPvRmT3_T4_T5_mT6_P12ihipStream_tbENKUlT_T0_E_clISt17integral_constantIbLb1EESP_EEDaSK_SL_EUlSK_E_NS1_11comp_targetILNS1_3genE5ELNS1_11target_archE942ELNS1_3gpuE9ELNS1_3repE0EEENS1_30default_config_static_selectorELNS0_4arch9wavefront6targetE0EEEvT1_
; %bb.0:
	.section	.rodata,"a",@progbits
	.p2align	6, 0x0
	.amdhsa_kernel _ZN7rocprim17ROCPRIM_400000_NS6detail17trampoline_kernelINS0_14default_configENS1_20scan_config_selectorIjEEZZNS1_9scan_implILNS1_25lookback_scan_determinismE0ELb1ELb1ES3_PjS8_jN6hipcub16HIPCUB_304000_NS3SumEjEEDaPvRmT3_T4_T5_mT6_P12ihipStream_tbENKUlT_T0_E_clISt17integral_constantIbLb1EESP_EEDaSK_SL_EUlSK_E_NS1_11comp_targetILNS1_3genE5ELNS1_11target_archE942ELNS1_3gpuE9ELNS1_3repE0EEENS1_30default_config_static_selectorELNS0_4arch9wavefront6targetE0EEEvT1_
		.amdhsa_group_segment_fixed_size 0
		.amdhsa_private_segment_fixed_size 0
		.amdhsa_kernarg_size 96
		.amdhsa_user_sgpr_count 2
		.amdhsa_user_sgpr_dispatch_ptr 0
		.amdhsa_user_sgpr_queue_ptr 0
		.amdhsa_user_sgpr_kernarg_segment_ptr 1
		.amdhsa_user_sgpr_dispatch_id 0
		.amdhsa_user_sgpr_kernarg_preload_length 0
		.amdhsa_user_sgpr_kernarg_preload_offset 0
		.amdhsa_user_sgpr_private_segment_size 0
		.amdhsa_wavefront_size32 1
		.amdhsa_uses_dynamic_stack 0
		.amdhsa_enable_private_segment 0
		.amdhsa_system_sgpr_workgroup_id_x 1
		.amdhsa_system_sgpr_workgroup_id_y 0
		.amdhsa_system_sgpr_workgroup_id_z 0
		.amdhsa_system_sgpr_workgroup_info 0
		.amdhsa_system_vgpr_workitem_id 0
		.amdhsa_next_free_vgpr 1
		.amdhsa_next_free_sgpr 1
		.amdhsa_named_barrier_count 0
		.amdhsa_reserve_vcc 0
		.amdhsa_float_round_mode_32 0
		.amdhsa_float_round_mode_16_64 0
		.amdhsa_float_denorm_mode_32 3
		.amdhsa_float_denorm_mode_16_64 3
		.amdhsa_fp16_overflow 0
		.amdhsa_memory_ordered 1
		.amdhsa_forward_progress 1
		.amdhsa_inst_pref_size 0
		.amdhsa_round_robin_scheduling 0
		.amdhsa_exception_fp_ieee_invalid_op 0
		.amdhsa_exception_fp_denorm_src 0
		.amdhsa_exception_fp_ieee_div_zero 0
		.amdhsa_exception_fp_ieee_overflow 0
		.amdhsa_exception_fp_ieee_underflow 0
		.amdhsa_exception_fp_ieee_inexact 0
		.amdhsa_exception_int_div_zero 0
	.end_amdhsa_kernel
	.section	.text._ZN7rocprim17ROCPRIM_400000_NS6detail17trampoline_kernelINS0_14default_configENS1_20scan_config_selectorIjEEZZNS1_9scan_implILNS1_25lookback_scan_determinismE0ELb1ELb1ES3_PjS8_jN6hipcub16HIPCUB_304000_NS3SumEjEEDaPvRmT3_T4_T5_mT6_P12ihipStream_tbENKUlT_T0_E_clISt17integral_constantIbLb1EESP_EEDaSK_SL_EUlSK_E_NS1_11comp_targetILNS1_3genE5ELNS1_11target_archE942ELNS1_3gpuE9ELNS1_3repE0EEENS1_30default_config_static_selectorELNS0_4arch9wavefront6targetE0EEEvT1_,"axG",@progbits,_ZN7rocprim17ROCPRIM_400000_NS6detail17trampoline_kernelINS0_14default_configENS1_20scan_config_selectorIjEEZZNS1_9scan_implILNS1_25lookback_scan_determinismE0ELb1ELb1ES3_PjS8_jN6hipcub16HIPCUB_304000_NS3SumEjEEDaPvRmT3_T4_T5_mT6_P12ihipStream_tbENKUlT_T0_E_clISt17integral_constantIbLb1EESP_EEDaSK_SL_EUlSK_E_NS1_11comp_targetILNS1_3genE5ELNS1_11target_archE942ELNS1_3gpuE9ELNS1_3repE0EEENS1_30default_config_static_selectorELNS0_4arch9wavefront6targetE0EEEvT1_,comdat
.Lfunc_end30:
	.size	_ZN7rocprim17ROCPRIM_400000_NS6detail17trampoline_kernelINS0_14default_configENS1_20scan_config_selectorIjEEZZNS1_9scan_implILNS1_25lookback_scan_determinismE0ELb1ELb1ES3_PjS8_jN6hipcub16HIPCUB_304000_NS3SumEjEEDaPvRmT3_T4_T5_mT6_P12ihipStream_tbENKUlT_T0_E_clISt17integral_constantIbLb1EESP_EEDaSK_SL_EUlSK_E_NS1_11comp_targetILNS1_3genE5ELNS1_11target_archE942ELNS1_3gpuE9ELNS1_3repE0EEENS1_30default_config_static_selectorELNS0_4arch9wavefront6targetE0EEEvT1_, .Lfunc_end30-_ZN7rocprim17ROCPRIM_400000_NS6detail17trampoline_kernelINS0_14default_configENS1_20scan_config_selectorIjEEZZNS1_9scan_implILNS1_25lookback_scan_determinismE0ELb1ELb1ES3_PjS8_jN6hipcub16HIPCUB_304000_NS3SumEjEEDaPvRmT3_T4_T5_mT6_P12ihipStream_tbENKUlT_T0_E_clISt17integral_constantIbLb1EESP_EEDaSK_SL_EUlSK_E_NS1_11comp_targetILNS1_3genE5ELNS1_11target_archE942ELNS1_3gpuE9ELNS1_3repE0EEENS1_30default_config_static_selectorELNS0_4arch9wavefront6targetE0EEEvT1_
                                        ; -- End function
	.set _ZN7rocprim17ROCPRIM_400000_NS6detail17trampoline_kernelINS0_14default_configENS1_20scan_config_selectorIjEEZZNS1_9scan_implILNS1_25lookback_scan_determinismE0ELb1ELb1ES3_PjS8_jN6hipcub16HIPCUB_304000_NS3SumEjEEDaPvRmT3_T4_T5_mT6_P12ihipStream_tbENKUlT_T0_E_clISt17integral_constantIbLb1EESP_EEDaSK_SL_EUlSK_E_NS1_11comp_targetILNS1_3genE5ELNS1_11target_archE942ELNS1_3gpuE9ELNS1_3repE0EEENS1_30default_config_static_selectorELNS0_4arch9wavefront6targetE0EEEvT1_.num_vgpr, 0
	.set _ZN7rocprim17ROCPRIM_400000_NS6detail17trampoline_kernelINS0_14default_configENS1_20scan_config_selectorIjEEZZNS1_9scan_implILNS1_25lookback_scan_determinismE0ELb1ELb1ES3_PjS8_jN6hipcub16HIPCUB_304000_NS3SumEjEEDaPvRmT3_T4_T5_mT6_P12ihipStream_tbENKUlT_T0_E_clISt17integral_constantIbLb1EESP_EEDaSK_SL_EUlSK_E_NS1_11comp_targetILNS1_3genE5ELNS1_11target_archE942ELNS1_3gpuE9ELNS1_3repE0EEENS1_30default_config_static_selectorELNS0_4arch9wavefront6targetE0EEEvT1_.num_agpr, 0
	.set _ZN7rocprim17ROCPRIM_400000_NS6detail17trampoline_kernelINS0_14default_configENS1_20scan_config_selectorIjEEZZNS1_9scan_implILNS1_25lookback_scan_determinismE0ELb1ELb1ES3_PjS8_jN6hipcub16HIPCUB_304000_NS3SumEjEEDaPvRmT3_T4_T5_mT6_P12ihipStream_tbENKUlT_T0_E_clISt17integral_constantIbLb1EESP_EEDaSK_SL_EUlSK_E_NS1_11comp_targetILNS1_3genE5ELNS1_11target_archE942ELNS1_3gpuE9ELNS1_3repE0EEENS1_30default_config_static_selectorELNS0_4arch9wavefront6targetE0EEEvT1_.numbered_sgpr, 0
	.set _ZN7rocprim17ROCPRIM_400000_NS6detail17trampoline_kernelINS0_14default_configENS1_20scan_config_selectorIjEEZZNS1_9scan_implILNS1_25lookback_scan_determinismE0ELb1ELb1ES3_PjS8_jN6hipcub16HIPCUB_304000_NS3SumEjEEDaPvRmT3_T4_T5_mT6_P12ihipStream_tbENKUlT_T0_E_clISt17integral_constantIbLb1EESP_EEDaSK_SL_EUlSK_E_NS1_11comp_targetILNS1_3genE5ELNS1_11target_archE942ELNS1_3gpuE9ELNS1_3repE0EEENS1_30default_config_static_selectorELNS0_4arch9wavefront6targetE0EEEvT1_.num_named_barrier, 0
	.set _ZN7rocprim17ROCPRIM_400000_NS6detail17trampoline_kernelINS0_14default_configENS1_20scan_config_selectorIjEEZZNS1_9scan_implILNS1_25lookback_scan_determinismE0ELb1ELb1ES3_PjS8_jN6hipcub16HIPCUB_304000_NS3SumEjEEDaPvRmT3_T4_T5_mT6_P12ihipStream_tbENKUlT_T0_E_clISt17integral_constantIbLb1EESP_EEDaSK_SL_EUlSK_E_NS1_11comp_targetILNS1_3genE5ELNS1_11target_archE942ELNS1_3gpuE9ELNS1_3repE0EEENS1_30default_config_static_selectorELNS0_4arch9wavefront6targetE0EEEvT1_.private_seg_size, 0
	.set _ZN7rocprim17ROCPRIM_400000_NS6detail17trampoline_kernelINS0_14default_configENS1_20scan_config_selectorIjEEZZNS1_9scan_implILNS1_25lookback_scan_determinismE0ELb1ELb1ES3_PjS8_jN6hipcub16HIPCUB_304000_NS3SumEjEEDaPvRmT3_T4_T5_mT6_P12ihipStream_tbENKUlT_T0_E_clISt17integral_constantIbLb1EESP_EEDaSK_SL_EUlSK_E_NS1_11comp_targetILNS1_3genE5ELNS1_11target_archE942ELNS1_3gpuE9ELNS1_3repE0EEENS1_30default_config_static_selectorELNS0_4arch9wavefront6targetE0EEEvT1_.uses_vcc, 0
	.set _ZN7rocprim17ROCPRIM_400000_NS6detail17trampoline_kernelINS0_14default_configENS1_20scan_config_selectorIjEEZZNS1_9scan_implILNS1_25lookback_scan_determinismE0ELb1ELb1ES3_PjS8_jN6hipcub16HIPCUB_304000_NS3SumEjEEDaPvRmT3_T4_T5_mT6_P12ihipStream_tbENKUlT_T0_E_clISt17integral_constantIbLb1EESP_EEDaSK_SL_EUlSK_E_NS1_11comp_targetILNS1_3genE5ELNS1_11target_archE942ELNS1_3gpuE9ELNS1_3repE0EEENS1_30default_config_static_selectorELNS0_4arch9wavefront6targetE0EEEvT1_.uses_flat_scratch, 0
	.set _ZN7rocprim17ROCPRIM_400000_NS6detail17trampoline_kernelINS0_14default_configENS1_20scan_config_selectorIjEEZZNS1_9scan_implILNS1_25lookback_scan_determinismE0ELb1ELb1ES3_PjS8_jN6hipcub16HIPCUB_304000_NS3SumEjEEDaPvRmT3_T4_T5_mT6_P12ihipStream_tbENKUlT_T0_E_clISt17integral_constantIbLb1EESP_EEDaSK_SL_EUlSK_E_NS1_11comp_targetILNS1_3genE5ELNS1_11target_archE942ELNS1_3gpuE9ELNS1_3repE0EEENS1_30default_config_static_selectorELNS0_4arch9wavefront6targetE0EEEvT1_.has_dyn_sized_stack, 0
	.set _ZN7rocprim17ROCPRIM_400000_NS6detail17trampoline_kernelINS0_14default_configENS1_20scan_config_selectorIjEEZZNS1_9scan_implILNS1_25lookback_scan_determinismE0ELb1ELb1ES3_PjS8_jN6hipcub16HIPCUB_304000_NS3SumEjEEDaPvRmT3_T4_T5_mT6_P12ihipStream_tbENKUlT_T0_E_clISt17integral_constantIbLb1EESP_EEDaSK_SL_EUlSK_E_NS1_11comp_targetILNS1_3genE5ELNS1_11target_archE942ELNS1_3gpuE9ELNS1_3repE0EEENS1_30default_config_static_selectorELNS0_4arch9wavefront6targetE0EEEvT1_.has_recursion, 0
	.set _ZN7rocprim17ROCPRIM_400000_NS6detail17trampoline_kernelINS0_14default_configENS1_20scan_config_selectorIjEEZZNS1_9scan_implILNS1_25lookback_scan_determinismE0ELb1ELb1ES3_PjS8_jN6hipcub16HIPCUB_304000_NS3SumEjEEDaPvRmT3_T4_T5_mT6_P12ihipStream_tbENKUlT_T0_E_clISt17integral_constantIbLb1EESP_EEDaSK_SL_EUlSK_E_NS1_11comp_targetILNS1_3genE5ELNS1_11target_archE942ELNS1_3gpuE9ELNS1_3repE0EEENS1_30default_config_static_selectorELNS0_4arch9wavefront6targetE0EEEvT1_.has_indirect_call, 0
	.section	.AMDGPU.csdata,"",@progbits
; Kernel info:
; codeLenInByte = 0
; TotalNumSgprs: 0
; NumVgprs: 0
; ScratchSize: 0
; MemoryBound: 0
; FloatMode: 240
; IeeeMode: 1
; LDSByteSize: 0 bytes/workgroup (compile time only)
; SGPRBlocks: 0
; VGPRBlocks: 0
; NumSGPRsForWavesPerEU: 1
; NumVGPRsForWavesPerEU: 1
; NamedBarCnt: 0
; Occupancy: 16
; WaveLimiterHint : 0
; COMPUTE_PGM_RSRC2:SCRATCH_EN: 0
; COMPUTE_PGM_RSRC2:USER_SGPR: 2
; COMPUTE_PGM_RSRC2:TRAP_HANDLER: 0
; COMPUTE_PGM_RSRC2:TGID_X_EN: 1
; COMPUTE_PGM_RSRC2:TGID_Y_EN: 0
; COMPUTE_PGM_RSRC2:TGID_Z_EN: 0
; COMPUTE_PGM_RSRC2:TIDIG_COMP_CNT: 0
	.section	.text._ZN7rocprim17ROCPRIM_400000_NS6detail17trampoline_kernelINS0_14default_configENS1_20scan_config_selectorIjEEZZNS1_9scan_implILNS1_25lookback_scan_determinismE0ELb1ELb1ES3_PjS8_jN6hipcub16HIPCUB_304000_NS3SumEjEEDaPvRmT3_T4_T5_mT6_P12ihipStream_tbENKUlT_T0_E_clISt17integral_constantIbLb1EESP_EEDaSK_SL_EUlSK_E_NS1_11comp_targetILNS1_3genE4ELNS1_11target_archE910ELNS1_3gpuE8ELNS1_3repE0EEENS1_30default_config_static_selectorELNS0_4arch9wavefront6targetE0EEEvT1_,"axG",@progbits,_ZN7rocprim17ROCPRIM_400000_NS6detail17trampoline_kernelINS0_14default_configENS1_20scan_config_selectorIjEEZZNS1_9scan_implILNS1_25lookback_scan_determinismE0ELb1ELb1ES3_PjS8_jN6hipcub16HIPCUB_304000_NS3SumEjEEDaPvRmT3_T4_T5_mT6_P12ihipStream_tbENKUlT_T0_E_clISt17integral_constantIbLb1EESP_EEDaSK_SL_EUlSK_E_NS1_11comp_targetILNS1_3genE4ELNS1_11target_archE910ELNS1_3gpuE8ELNS1_3repE0EEENS1_30default_config_static_selectorELNS0_4arch9wavefront6targetE0EEEvT1_,comdat
	.protected	_ZN7rocprim17ROCPRIM_400000_NS6detail17trampoline_kernelINS0_14default_configENS1_20scan_config_selectorIjEEZZNS1_9scan_implILNS1_25lookback_scan_determinismE0ELb1ELb1ES3_PjS8_jN6hipcub16HIPCUB_304000_NS3SumEjEEDaPvRmT3_T4_T5_mT6_P12ihipStream_tbENKUlT_T0_E_clISt17integral_constantIbLb1EESP_EEDaSK_SL_EUlSK_E_NS1_11comp_targetILNS1_3genE4ELNS1_11target_archE910ELNS1_3gpuE8ELNS1_3repE0EEENS1_30default_config_static_selectorELNS0_4arch9wavefront6targetE0EEEvT1_ ; -- Begin function _ZN7rocprim17ROCPRIM_400000_NS6detail17trampoline_kernelINS0_14default_configENS1_20scan_config_selectorIjEEZZNS1_9scan_implILNS1_25lookback_scan_determinismE0ELb1ELb1ES3_PjS8_jN6hipcub16HIPCUB_304000_NS3SumEjEEDaPvRmT3_T4_T5_mT6_P12ihipStream_tbENKUlT_T0_E_clISt17integral_constantIbLb1EESP_EEDaSK_SL_EUlSK_E_NS1_11comp_targetILNS1_3genE4ELNS1_11target_archE910ELNS1_3gpuE8ELNS1_3repE0EEENS1_30default_config_static_selectorELNS0_4arch9wavefront6targetE0EEEvT1_
	.globl	_ZN7rocprim17ROCPRIM_400000_NS6detail17trampoline_kernelINS0_14default_configENS1_20scan_config_selectorIjEEZZNS1_9scan_implILNS1_25lookback_scan_determinismE0ELb1ELb1ES3_PjS8_jN6hipcub16HIPCUB_304000_NS3SumEjEEDaPvRmT3_T4_T5_mT6_P12ihipStream_tbENKUlT_T0_E_clISt17integral_constantIbLb1EESP_EEDaSK_SL_EUlSK_E_NS1_11comp_targetILNS1_3genE4ELNS1_11target_archE910ELNS1_3gpuE8ELNS1_3repE0EEENS1_30default_config_static_selectorELNS0_4arch9wavefront6targetE0EEEvT1_
	.p2align	8
	.type	_ZN7rocprim17ROCPRIM_400000_NS6detail17trampoline_kernelINS0_14default_configENS1_20scan_config_selectorIjEEZZNS1_9scan_implILNS1_25lookback_scan_determinismE0ELb1ELb1ES3_PjS8_jN6hipcub16HIPCUB_304000_NS3SumEjEEDaPvRmT3_T4_T5_mT6_P12ihipStream_tbENKUlT_T0_E_clISt17integral_constantIbLb1EESP_EEDaSK_SL_EUlSK_E_NS1_11comp_targetILNS1_3genE4ELNS1_11target_archE910ELNS1_3gpuE8ELNS1_3repE0EEENS1_30default_config_static_selectorELNS0_4arch9wavefront6targetE0EEEvT1_,@function
_ZN7rocprim17ROCPRIM_400000_NS6detail17trampoline_kernelINS0_14default_configENS1_20scan_config_selectorIjEEZZNS1_9scan_implILNS1_25lookback_scan_determinismE0ELb1ELb1ES3_PjS8_jN6hipcub16HIPCUB_304000_NS3SumEjEEDaPvRmT3_T4_T5_mT6_P12ihipStream_tbENKUlT_T0_E_clISt17integral_constantIbLb1EESP_EEDaSK_SL_EUlSK_E_NS1_11comp_targetILNS1_3genE4ELNS1_11target_archE910ELNS1_3gpuE8ELNS1_3repE0EEENS1_30default_config_static_selectorELNS0_4arch9wavefront6targetE0EEEvT1_: ; @_ZN7rocprim17ROCPRIM_400000_NS6detail17trampoline_kernelINS0_14default_configENS1_20scan_config_selectorIjEEZZNS1_9scan_implILNS1_25lookback_scan_determinismE0ELb1ELb1ES3_PjS8_jN6hipcub16HIPCUB_304000_NS3SumEjEEDaPvRmT3_T4_T5_mT6_P12ihipStream_tbENKUlT_T0_E_clISt17integral_constantIbLb1EESP_EEDaSK_SL_EUlSK_E_NS1_11comp_targetILNS1_3genE4ELNS1_11target_archE910ELNS1_3gpuE8ELNS1_3repE0EEENS1_30default_config_static_selectorELNS0_4arch9wavefront6targetE0EEEvT1_
; %bb.0:
	.section	.rodata,"a",@progbits
	.p2align	6, 0x0
	.amdhsa_kernel _ZN7rocprim17ROCPRIM_400000_NS6detail17trampoline_kernelINS0_14default_configENS1_20scan_config_selectorIjEEZZNS1_9scan_implILNS1_25lookback_scan_determinismE0ELb1ELb1ES3_PjS8_jN6hipcub16HIPCUB_304000_NS3SumEjEEDaPvRmT3_T4_T5_mT6_P12ihipStream_tbENKUlT_T0_E_clISt17integral_constantIbLb1EESP_EEDaSK_SL_EUlSK_E_NS1_11comp_targetILNS1_3genE4ELNS1_11target_archE910ELNS1_3gpuE8ELNS1_3repE0EEENS1_30default_config_static_selectorELNS0_4arch9wavefront6targetE0EEEvT1_
		.amdhsa_group_segment_fixed_size 0
		.amdhsa_private_segment_fixed_size 0
		.amdhsa_kernarg_size 96
		.amdhsa_user_sgpr_count 2
		.amdhsa_user_sgpr_dispatch_ptr 0
		.amdhsa_user_sgpr_queue_ptr 0
		.amdhsa_user_sgpr_kernarg_segment_ptr 1
		.amdhsa_user_sgpr_dispatch_id 0
		.amdhsa_user_sgpr_kernarg_preload_length 0
		.amdhsa_user_sgpr_kernarg_preload_offset 0
		.amdhsa_user_sgpr_private_segment_size 0
		.amdhsa_wavefront_size32 1
		.amdhsa_uses_dynamic_stack 0
		.amdhsa_enable_private_segment 0
		.amdhsa_system_sgpr_workgroup_id_x 1
		.amdhsa_system_sgpr_workgroup_id_y 0
		.amdhsa_system_sgpr_workgroup_id_z 0
		.amdhsa_system_sgpr_workgroup_info 0
		.amdhsa_system_vgpr_workitem_id 0
		.amdhsa_next_free_vgpr 1
		.amdhsa_next_free_sgpr 1
		.amdhsa_named_barrier_count 0
		.amdhsa_reserve_vcc 0
		.amdhsa_float_round_mode_32 0
		.amdhsa_float_round_mode_16_64 0
		.amdhsa_float_denorm_mode_32 3
		.amdhsa_float_denorm_mode_16_64 3
		.amdhsa_fp16_overflow 0
		.amdhsa_memory_ordered 1
		.amdhsa_forward_progress 1
		.amdhsa_inst_pref_size 0
		.amdhsa_round_robin_scheduling 0
		.amdhsa_exception_fp_ieee_invalid_op 0
		.amdhsa_exception_fp_denorm_src 0
		.amdhsa_exception_fp_ieee_div_zero 0
		.amdhsa_exception_fp_ieee_overflow 0
		.amdhsa_exception_fp_ieee_underflow 0
		.amdhsa_exception_fp_ieee_inexact 0
		.amdhsa_exception_int_div_zero 0
	.end_amdhsa_kernel
	.section	.text._ZN7rocprim17ROCPRIM_400000_NS6detail17trampoline_kernelINS0_14default_configENS1_20scan_config_selectorIjEEZZNS1_9scan_implILNS1_25lookback_scan_determinismE0ELb1ELb1ES3_PjS8_jN6hipcub16HIPCUB_304000_NS3SumEjEEDaPvRmT3_T4_T5_mT6_P12ihipStream_tbENKUlT_T0_E_clISt17integral_constantIbLb1EESP_EEDaSK_SL_EUlSK_E_NS1_11comp_targetILNS1_3genE4ELNS1_11target_archE910ELNS1_3gpuE8ELNS1_3repE0EEENS1_30default_config_static_selectorELNS0_4arch9wavefront6targetE0EEEvT1_,"axG",@progbits,_ZN7rocprim17ROCPRIM_400000_NS6detail17trampoline_kernelINS0_14default_configENS1_20scan_config_selectorIjEEZZNS1_9scan_implILNS1_25lookback_scan_determinismE0ELb1ELb1ES3_PjS8_jN6hipcub16HIPCUB_304000_NS3SumEjEEDaPvRmT3_T4_T5_mT6_P12ihipStream_tbENKUlT_T0_E_clISt17integral_constantIbLb1EESP_EEDaSK_SL_EUlSK_E_NS1_11comp_targetILNS1_3genE4ELNS1_11target_archE910ELNS1_3gpuE8ELNS1_3repE0EEENS1_30default_config_static_selectorELNS0_4arch9wavefront6targetE0EEEvT1_,comdat
.Lfunc_end31:
	.size	_ZN7rocprim17ROCPRIM_400000_NS6detail17trampoline_kernelINS0_14default_configENS1_20scan_config_selectorIjEEZZNS1_9scan_implILNS1_25lookback_scan_determinismE0ELb1ELb1ES3_PjS8_jN6hipcub16HIPCUB_304000_NS3SumEjEEDaPvRmT3_T4_T5_mT6_P12ihipStream_tbENKUlT_T0_E_clISt17integral_constantIbLb1EESP_EEDaSK_SL_EUlSK_E_NS1_11comp_targetILNS1_3genE4ELNS1_11target_archE910ELNS1_3gpuE8ELNS1_3repE0EEENS1_30default_config_static_selectorELNS0_4arch9wavefront6targetE0EEEvT1_, .Lfunc_end31-_ZN7rocprim17ROCPRIM_400000_NS6detail17trampoline_kernelINS0_14default_configENS1_20scan_config_selectorIjEEZZNS1_9scan_implILNS1_25lookback_scan_determinismE0ELb1ELb1ES3_PjS8_jN6hipcub16HIPCUB_304000_NS3SumEjEEDaPvRmT3_T4_T5_mT6_P12ihipStream_tbENKUlT_T0_E_clISt17integral_constantIbLb1EESP_EEDaSK_SL_EUlSK_E_NS1_11comp_targetILNS1_3genE4ELNS1_11target_archE910ELNS1_3gpuE8ELNS1_3repE0EEENS1_30default_config_static_selectorELNS0_4arch9wavefront6targetE0EEEvT1_
                                        ; -- End function
	.set _ZN7rocprim17ROCPRIM_400000_NS6detail17trampoline_kernelINS0_14default_configENS1_20scan_config_selectorIjEEZZNS1_9scan_implILNS1_25lookback_scan_determinismE0ELb1ELb1ES3_PjS8_jN6hipcub16HIPCUB_304000_NS3SumEjEEDaPvRmT3_T4_T5_mT6_P12ihipStream_tbENKUlT_T0_E_clISt17integral_constantIbLb1EESP_EEDaSK_SL_EUlSK_E_NS1_11comp_targetILNS1_3genE4ELNS1_11target_archE910ELNS1_3gpuE8ELNS1_3repE0EEENS1_30default_config_static_selectorELNS0_4arch9wavefront6targetE0EEEvT1_.num_vgpr, 0
	.set _ZN7rocprim17ROCPRIM_400000_NS6detail17trampoline_kernelINS0_14default_configENS1_20scan_config_selectorIjEEZZNS1_9scan_implILNS1_25lookback_scan_determinismE0ELb1ELb1ES3_PjS8_jN6hipcub16HIPCUB_304000_NS3SumEjEEDaPvRmT3_T4_T5_mT6_P12ihipStream_tbENKUlT_T0_E_clISt17integral_constantIbLb1EESP_EEDaSK_SL_EUlSK_E_NS1_11comp_targetILNS1_3genE4ELNS1_11target_archE910ELNS1_3gpuE8ELNS1_3repE0EEENS1_30default_config_static_selectorELNS0_4arch9wavefront6targetE0EEEvT1_.num_agpr, 0
	.set _ZN7rocprim17ROCPRIM_400000_NS6detail17trampoline_kernelINS0_14default_configENS1_20scan_config_selectorIjEEZZNS1_9scan_implILNS1_25lookback_scan_determinismE0ELb1ELb1ES3_PjS8_jN6hipcub16HIPCUB_304000_NS3SumEjEEDaPvRmT3_T4_T5_mT6_P12ihipStream_tbENKUlT_T0_E_clISt17integral_constantIbLb1EESP_EEDaSK_SL_EUlSK_E_NS1_11comp_targetILNS1_3genE4ELNS1_11target_archE910ELNS1_3gpuE8ELNS1_3repE0EEENS1_30default_config_static_selectorELNS0_4arch9wavefront6targetE0EEEvT1_.numbered_sgpr, 0
	.set _ZN7rocprim17ROCPRIM_400000_NS6detail17trampoline_kernelINS0_14default_configENS1_20scan_config_selectorIjEEZZNS1_9scan_implILNS1_25lookback_scan_determinismE0ELb1ELb1ES3_PjS8_jN6hipcub16HIPCUB_304000_NS3SumEjEEDaPvRmT3_T4_T5_mT6_P12ihipStream_tbENKUlT_T0_E_clISt17integral_constantIbLb1EESP_EEDaSK_SL_EUlSK_E_NS1_11comp_targetILNS1_3genE4ELNS1_11target_archE910ELNS1_3gpuE8ELNS1_3repE0EEENS1_30default_config_static_selectorELNS0_4arch9wavefront6targetE0EEEvT1_.num_named_barrier, 0
	.set _ZN7rocprim17ROCPRIM_400000_NS6detail17trampoline_kernelINS0_14default_configENS1_20scan_config_selectorIjEEZZNS1_9scan_implILNS1_25lookback_scan_determinismE0ELb1ELb1ES3_PjS8_jN6hipcub16HIPCUB_304000_NS3SumEjEEDaPvRmT3_T4_T5_mT6_P12ihipStream_tbENKUlT_T0_E_clISt17integral_constantIbLb1EESP_EEDaSK_SL_EUlSK_E_NS1_11comp_targetILNS1_3genE4ELNS1_11target_archE910ELNS1_3gpuE8ELNS1_3repE0EEENS1_30default_config_static_selectorELNS0_4arch9wavefront6targetE0EEEvT1_.private_seg_size, 0
	.set _ZN7rocprim17ROCPRIM_400000_NS6detail17trampoline_kernelINS0_14default_configENS1_20scan_config_selectorIjEEZZNS1_9scan_implILNS1_25lookback_scan_determinismE0ELb1ELb1ES3_PjS8_jN6hipcub16HIPCUB_304000_NS3SumEjEEDaPvRmT3_T4_T5_mT6_P12ihipStream_tbENKUlT_T0_E_clISt17integral_constantIbLb1EESP_EEDaSK_SL_EUlSK_E_NS1_11comp_targetILNS1_3genE4ELNS1_11target_archE910ELNS1_3gpuE8ELNS1_3repE0EEENS1_30default_config_static_selectorELNS0_4arch9wavefront6targetE0EEEvT1_.uses_vcc, 0
	.set _ZN7rocprim17ROCPRIM_400000_NS6detail17trampoline_kernelINS0_14default_configENS1_20scan_config_selectorIjEEZZNS1_9scan_implILNS1_25lookback_scan_determinismE0ELb1ELb1ES3_PjS8_jN6hipcub16HIPCUB_304000_NS3SumEjEEDaPvRmT3_T4_T5_mT6_P12ihipStream_tbENKUlT_T0_E_clISt17integral_constantIbLb1EESP_EEDaSK_SL_EUlSK_E_NS1_11comp_targetILNS1_3genE4ELNS1_11target_archE910ELNS1_3gpuE8ELNS1_3repE0EEENS1_30default_config_static_selectorELNS0_4arch9wavefront6targetE0EEEvT1_.uses_flat_scratch, 0
	.set _ZN7rocprim17ROCPRIM_400000_NS6detail17trampoline_kernelINS0_14default_configENS1_20scan_config_selectorIjEEZZNS1_9scan_implILNS1_25lookback_scan_determinismE0ELb1ELb1ES3_PjS8_jN6hipcub16HIPCUB_304000_NS3SumEjEEDaPvRmT3_T4_T5_mT6_P12ihipStream_tbENKUlT_T0_E_clISt17integral_constantIbLb1EESP_EEDaSK_SL_EUlSK_E_NS1_11comp_targetILNS1_3genE4ELNS1_11target_archE910ELNS1_3gpuE8ELNS1_3repE0EEENS1_30default_config_static_selectorELNS0_4arch9wavefront6targetE0EEEvT1_.has_dyn_sized_stack, 0
	.set _ZN7rocprim17ROCPRIM_400000_NS6detail17trampoline_kernelINS0_14default_configENS1_20scan_config_selectorIjEEZZNS1_9scan_implILNS1_25lookback_scan_determinismE0ELb1ELb1ES3_PjS8_jN6hipcub16HIPCUB_304000_NS3SumEjEEDaPvRmT3_T4_T5_mT6_P12ihipStream_tbENKUlT_T0_E_clISt17integral_constantIbLb1EESP_EEDaSK_SL_EUlSK_E_NS1_11comp_targetILNS1_3genE4ELNS1_11target_archE910ELNS1_3gpuE8ELNS1_3repE0EEENS1_30default_config_static_selectorELNS0_4arch9wavefront6targetE0EEEvT1_.has_recursion, 0
	.set _ZN7rocprim17ROCPRIM_400000_NS6detail17trampoline_kernelINS0_14default_configENS1_20scan_config_selectorIjEEZZNS1_9scan_implILNS1_25lookback_scan_determinismE0ELb1ELb1ES3_PjS8_jN6hipcub16HIPCUB_304000_NS3SumEjEEDaPvRmT3_T4_T5_mT6_P12ihipStream_tbENKUlT_T0_E_clISt17integral_constantIbLb1EESP_EEDaSK_SL_EUlSK_E_NS1_11comp_targetILNS1_3genE4ELNS1_11target_archE910ELNS1_3gpuE8ELNS1_3repE0EEENS1_30default_config_static_selectorELNS0_4arch9wavefront6targetE0EEEvT1_.has_indirect_call, 0
	.section	.AMDGPU.csdata,"",@progbits
; Kernel info:
; codeLenInByte = 0
; TotalNumSgprs: 0
; NumVgprs: 0
; ScratchSize: 0
; MemoryBound: 0
; FloatMode: 240
; IeeeMode: 1
; LDSByteSize: 0 bytes/workgroup (compile time only)
; SGPRBlocks: 0
; VGPRBlocks: 0
; NumSGPRsForWavesPerEU: 1
; NumVGPRsForWavesPerEU: 1
; NamedBarCnt: 0
; Occupancy: 16
; WaveLimiterHint : 0
; COMPUTE_PGM_RSRC2:SCRATCH_EN: 0
; COMPUTE_PGM_RSRC2:USER_SGPR: 2
; COMPUTE_PGM_RSRC2:TRAP_HANDLER: 0
; COMPUTE_PGM_RSRC2:TGID_X_EN: 1
; COMPUTE_PGM_RSRC2:TGID_Y_EN: 0
; COMPUTE_PGM_RSRC2:TGID_Z_EN: 0
; COMPUTE_PGM_RSRC2:TIDIG_COMP_CNT: 0
	.section	.text._ZN7rocprim17ROCPRIM_400000_NS6detail17trampoline_kernelINS0_14default_configENS1_20scan_config_selectorIjEEZZNS1_9scan_implILNS1_25lookback_scan_determinismE0ELb1ELb1ES3_PjS8_jN6hipcub16HIPCUB_304000_NS3SumEjEEDaPvRmT3_T4_T5_mT6_P12ihipStream_tbENKUlT_T0_E_clISt17integral_constantIbLb1EESP_EEDaSK_SL_EUlSK_E_NS1_11comp_targetILNS1_3genE3ELNS1_11target_archE908ELNS1_3gpuE7ELNS1_3repE0EEENS1_30default_config_static_selectorELNS0_4arch9wavefront6targetE0EEEvT1_,"axG",@progbits,_ZN7rocprim17ROCPRIM_400000_NS6detail17trampoline_kernelINS0_14default_configENS1_20scan_config_selectorIjEEZZNS1_9scan_implILNS1_25lookback_scan_determinismE0ELb1ELb1ES3_PjS8_jN6hipcub16HIPCUB_304000_NS3SumEjEEDaPvRmT3_T4_T5_mT6_P12ihipStream_tbENKUlT_T0_E_clISt17integral_constantIbLb1EESP_EEDaSK_SL_EUlSK_E_NS1_11comp_targetILNS1_3genE3ELNS1_11target_archE908ELNS1_3gpuE7ELNS1_3repE0EEENS1_30default_config_static_selectorELNS0_4arch9wavefront6targetE0EEEvT1_,comdat
	.protected	_ZN7rocprim17ROCPRIM_400000_NS6detail17trampoline_kernelINS0_14default_configENS1_20scan_config_selectorIjEEZZNS1_9scan_implILNS1_25lookback_scan_determinismE0ELb1ELb1ES3_PjS8_jN6hipcub16HIPCUB_304000_NS3SumEjEEDaPvRmT3_T4_T5_mT6_P12ihipStream_tbENKUlT_T0_E_clISt17integral_constantIbLb1EESP_EEDaSK_SL_EUlSK_E_NS1_11comp_targetILNS1_3genE3ELNS1_11target_archE908ELNS1_3gpuE7ELNS1_3repE0EEENS1_30default_config_static_selectorELNS0_4arch9wavefront6targetE0EEEvT1_ ; -- Begin function _ZN7rocprim17ROCPRIM_400000_NS6detail17trampoline_kernelINS0_14default_configENS1_20scan_config_selectorIjEEZZNS1_9scan_implILNS1_25lookback_scan_determinismE0ELb1ELb1ES3_PjS8_jN6hipcub16HIPCUB_304000_NS3SumEjEEDaPvRmT3_T4_T5_mT6_P12ihipStream_tbENKUlT_T0_E_clISt17integral_constantIbLb1EESP_EEDaSK_SL_EUlSK_E_NS1_11comp_targetILNS1_3genE3ELNS1_11target_archE908ELNS1_3gpuE7ELNS1_3repE0EEENS1_30default_config_static_selectorELNS0_4arch9wavefront6targetE0EEEvT1_
	.globl	_ZN7rocprim17ROCPRIM_400000_NS6detail17trampoline_kernelINS0_14default_configENS1_20scan_config_selectorIjEEZZNS1_9scan_implILNS1_25lookback_scan_determinismE0ELb1ELb1ES3_PjS8_jN6hipcub16HIPCUB_304000_NS3SumEjEEDaPvRmT3_T4_T5_mT6_P12ihipStream_tbENKUlT_T0_E_clISt17integral_constantIbLb1EESP_EEDaSK_SL_EUlSK_E_NS1_11comp_targetILNS1_3genE3ELNS1_11target_archE908ELNS1_3gpuE7ELNS1_3repE0EEENS1_30default_config_static_selectorELNS0_4arch9wavefront6targetE0EEEvT1_
	.p2align	8
	.type	_ZN7rocprim17ROCPRIM_400000_NS6detail17trampoline_kernelINS0_14default_configENS1_20scan_config_selectorIjEEZZNS1_9scan_implILNS1_25lookback_scan_determinismE0ELb1ELb1ES3_PjS8_jN6hipcub16HIPCUB_304000_NS3SumEjEEDaPvRmT3_T4_T5_mT6_P12ihipStream_tbENKUlT_T0_E_clISt17integral_constantIbLb1EESP_EEDaSK_SL_EUlSK_E_NS1_11comp_targetILNS1_3genE3ELNS1_11target_archE908ELNS1_3gpuE7ELNS1_3repE0EEENS1_30default_config_static_selectorELNS0_4arch9wavefront6targetE0EEEvT1_,@function
_ZN7rocprim17ROCPRIM_400000_NS6detail17trampoline_kernelINS0_14default_configENS1_20scan_config_selectorIjEEZZNS1_9scan_implILNS1_25lookback_scan_determinismE0ELb1ELb1ES3_PjS8_jN6hipcub16HIPCUB_304000_NS3SumEjEEDaPvRmT3_T4_T5_mT6_P12ihipStream_tbENKUlT_T0_E_clISt17integral_constantIbLb1EESP_EEDaSK_SL_EUlSK_E_NS1_11comp_targetILNS1_3genE3ELNS1_11target_archE908ELNS1_3gpuE7ELNS1_3repE0EEENS1_30default_config_static_selectorELNS0_4arch9wavefront6targetE0EEEvT1_: ; @_ZN7rocprim17ROCPRIM_400000_NS6detail17trampoline_kernelINS0_14default_configENS1_20scan_config_selectorIjEEZZNS1_9scan_implILNS1_25lookback_scan_determinismE0ELb1ELb1ES3_PjS8_jN6hipcub16HIPCUB_304000_NS3SumEjEEDaPvRmT3_T4_T5_mT6_P12ihipStream_tbENKUlT_T0_E_clISt17integral_constantIbLb1EESP_EEDaSK_SL_EUlSK_E_NS1_11comp_targetILNS1_3genE3ELNS1_11target_archE908ELNS1_3gpuE7ELNS1_3repE0EEENS1_30default_config_static_selectorELNS0_4arch9wavefront6targetE0EEEvT1_
; %bb.0:
	.section	.rodata,"a",@progbits
	.p2align	6, 0x0
	.amdhsa_kernel _ZN7rocprim17ROCPRIM_400000_NS6detail17trampoline_kernelINS0_14default_configENS1_20scan_config_selectorIjEEZZNS1_9scan_implILNS1_25lookback_scan_determinismE0ELb1ELb1ES3_PjS8_jN6hipcub16HIPCUB_304000_NS3SumEjEEDaPvRmT3_T4_T5_mT6_P12ihipStream_tbENKUlT_T0_E_clISt17integral_constantIbLb1EESP_EEDaSK_SL_EUlSK_E_NS1_11comp_targetILNS1_3genE3ELNS1_11target_archE908ELNS1_3gpuE7ELNS1_3repE0EEENS1_30default_config_static_selectorELNS0_4arch9wavefront6targetE0EEEvT1_
		.amdhsa_group_segment_fixed_size 0
		.amdhsa_private_segment_fixed_size 0
		.amdhsa_kernarg_size 96
		.amdhsa_user_sgpr_count 2
		.amdhsa_user_sgpr_dispatch_ptr 0
		.amdhsa_user_sgpr_queue_ptr 0
		.amdhsa_user_sgpr_kernarg_segment_ptr 1
		.amdhsa_user_sgpr_dispatch_id 0
		.amdhsa_user_sgpr_kernarg_preload_length 0
		.amdhsa_user_sgpr_kernarg_preload_offset 0
		.amdhsa_user_sgpr_private_segment_size 0
		.amdhsa_wavefront_size32 1
		.amdhsa_uses_dynamic_stack 0
		.amdhsa_enable_private_segment 0
		.amdhsa_system_sgpr_workgroup_id_x 1
		.amdhsa_system_sgpr_workgroup_id_y 0
		.amdhsa_system_sgpr_workgroup_id_z 0
		.amdhsa_system_sgpr_workgroup_info 0
		.amdhsa_system_vgpr_workitem_id 0
		.amdhsa_next_free_vgpr 1
		.amdhsa_next_free_sgpr 1
		.amdhsa_named_barrier_count 0
		.amdhsa_reserve_vcc 0
		.amdhsa_float_round_mode_32 0
		.amdhsa_float_round_mode_16_64 0
		.amdhsa_float_denorm_mode_32 3
		.amdhsa_float_denorm_mode_16_64 3
		.amdhsa_fp16_overflow 0
		.amdhsa_memory_ordered 1
		.amdhsa_forward_progress 1
		.amdhsa_inst_pref_size 0
		.amdhsa_round_robin_scheduling 0
		.amdhsa_exception_fp_ieee_invalid_op 0
		.amdhsa_exception_fp_denorm_src 0
		.amdhsa_exception_fp_ieee_div_zero 0
		.amdhsa_exception_fp_ieee_overflow 0
		.amdhsa_exception_fp_ieee_underflow 0
		.amdhsa_exception_fp_ieee_inexact 0
		.amdhsa_exception_int_div_zero 0
	.end_amdhsa_kernel
	.section	.text._ZN7rocprim17ROCPRIM_400000_NS6detail17trampoline_kernelINS0_14default_configENS1_20scan_config_selectorIjEEZZNS1_9scan_implILNS1_25lookback_scan_determinismE0ELb1ELb1ES3_PjS8_jN6hipcub16HIPCUB_304000_NS3SumEjEEDaPvRmT3_T4_T5_mT6_P12ihipStream_tbENKUlT_T0_E_clISt17integral_constantIbLb1EESP_EEDaSK_SL_EUlSK_E_NS1_11comp_targetILNS1_3genE3ELNS1_11target_archE908ELNS1_3gpuE7ELNS1_3repE0EEENS1_30default_config_static_selectorELNS0_4arch9wavefront6targetE0EEEvT1_,"axG",@progbits,_ZN7rocprim17ROCPRIM_400000_NS6detail17trampoline_kernelINS0_14default_configENS1_20scan_config_selectorIjEEZZNS1_9scan_implILNS1_25lookback_scan_determinismE0ELb1ELb1ES3_PjS8_jN6hipcub16HIPCUB_304000_NS3SumEjEEDaPvRmT3_T4_T5_mT6_P12ihipStream_tbENKUlT_T0_E_clISt17integral_constantIbLb1EESP_EEDaSK_SL_EUlSK_E_NS1_11comp_targetILNS1_3genE3ELNS1_11target_archE908ELNS1_3gpuE7ELNS1_3repE0EEENS1_30default_config_static_selectorELNS0_4arch9wavefront6targetE0EEEvT1_,comdat
.Lfunc_end32:
	.size	_ZN7rocprim17ROCPRIM_400000_NS6detail17trampoline_kernelINS0_14default_configENS1_20scan_config_selectorIjEEZZNS1_9scan_implILNS1_25lookback_scan_determinismE0ELb1ELb1ES3_PjS8_jN6hipcub16HIPCUB_304000_NS3SumEjEEDaPvRmT3_T4_T5_mT6_P12ihipStream_tbENKUlT_T0_E_clISt17integral_constantIbLb1EESP_EEDaSK_SL_EUlSK_E_NS1_11comp_targetILNS1_3genE3ELNS1_11target_archE908ELNS1_3gpuE7ELNS1_3repE0EEENS1_30default_config_static_selectorELNS0_4arch9wavefront6targetE0EEEvT1_, .Lfunc_end32-_ZN7rocprim17ROCPRIM_400000_NS6detail17trampoline_kernelINS0_14default_configENS1_20scan_config_selectorIjEEZZNS1_9scan_implILNS1_25lookback_scan_determinismE0ELb1ELb1ES3_PjS8_jN6hipcub16HIPCUB_304000_NS3SumEjEEDaPvRmT3_T4_T5_mT6_P12ihipStream_tbENKUlT_T0_E_clISt17integral_constantIbLb1EESP_EEDaSK_SL_EUlSK_E_NS1_11comp_targetILNS1_3genE3ELNS1_11target_archE908ELNS1_3gpuE7ELNS1_3repE0EEENS1_30default_config_static_selectorELNS0_4arch9wavefront6targetE0EEEvT1_
                                        ; -- End function
	.set _ZN7rocprim17ROCPRIM_400000_NS6detail17trampoline_kernelINS0_14default_configENS1_20scan_config_selectorIjEEZZNS1_9scan_implILNS1_25lookback_scan_determinismE0ELb1ELb1ES3_PjS8_jN6hipcub16HIPCUB_304000_NS3SumEjEEDaPvRmT3_T4_T5_mT6_P12ihipStream_tbENKUlT_T0_E_clISt17integral_constantIbLb1EESP_EEDaSK_SL_EUlSK_E_NS1_11comp_targetILNS1_3genE3ELNS1_11target_archE908ELNS1_3gpuE7ELNS1_3repE0EEENS1_30default_config_static_selectorELNS0_4arch9wavefront6targetE0EEEvT1_.num_vgpr, 0
	.set _ZN7rocprim17ROCPRIM_400000_NS6detail17trampoline_kernelINS0_14default_configENS1_20scan_config_selectorIjEEZZNS1_9scan_implILNS1_25lookback_scan_determinismE0ELb1ELb1ES3_PjS8_jN6hipcub16HIPCUB_304000_NS3SumEjEEDaPvRmT3_T4_T5_mT6_P12ihipStream_tbENKUlT_T0_E_clISt17integral_constantIbLb1EESP_EEDaSK_SL_EUlSK_E_NS1_11comp_targetILNS1_3genE3ELNS1_11target_archE908ELNS1_3gpuE7ELNS1_3repE0EEENS1_30default_config_static_selectorELNS0_4arch9wavefront6targetE0EEEvT1_.num_agpr, 0
	.set _ZN7rocprim17ROCPRIM_400000_NS6detail17trampoline_kernelINS0_14default_configENS1_20scan_config_selectorIjEEZZNS1_9scan_implILNS1_25lookback_scan_determinismE0ELb1ELb1ES3_PjS8_jN6hipcub16HIPCUB_304000_NS3SumEjEEDaPvRmT3_T4_T5_mT6_P12ihipStream_tbENKUlT_T0_E_clISt17integral_constantIbLb1EESP_EEDaSK_SL_EUlSK_E_NS1_11comp_targetILNS1_3genE3ELNS1_11target_archE908ELNS1_3gpuE7ELNS1_3repE0EEENS1_30default_config_static_selectorELNS0_4arch9wavefront6targetE0EEEvT1_.numbered_sgpr, 0
	.set _ZN7rocprim17ROCPRIM_400000_NS6detail17trampoline_kernelINS0_14default_configENS1_20scan_config_selectorIjEEZZNS1_9scan_implILNS1_25lookback_scan_determinismE0ELb1ELb1ES3_PjS8_jN6hipcub16HIPCUB_304000_NS3SumEjEEDaPvRmT3_T4_T5_mT6_P12ihipStream_tbENKUlT_T0_E_clISt17integral_constantIbLb1EESP_EEDaSK_SL_EUlSK_E_NS1_11comp_targetILNS1_3genE3ELNS1_11target_archE908ELNS1_3gpuE7ELNS1_3repE0EEENS1_30default_config_static_selectorELNS0_4arch9wavefront6targetE0EEEvT1_.num_named_barrier, 0
	.set _ZN7rocprim17ROCPRIM_400000_NS6detail17trampoline_kernelINS0_14default_configENS1_20scan_config_selectorIjEEZZNS1_9scan_implILNS1_25lookback_scan_determinismE0ELb1ELb1ES3_PjS8_jN6hipcub16HIPCUB_304000_NS3SumEjEEDaPvRmT3_T4_T5_mT6_P12ihipStream_tbENKUlT_T0_E_clISt17integral_constantIbLb1EESP_EEDaSK_SL_EUlSK_E_NS1_11comp_targetILNS1_3genE3ELNS1_11target_archE908ELNS1_3gpuE7ELNS1_3repE0EEENS1_30default_config_static_selectorELNS0_4arch9wavefront6targetE0EEEvT1_.private_seg_size, 0
	.set _ZN7rocprim17ROCPRIM_400000_NS6detail17trampoline_kernelINS0_14default_configENS1_20scan_config_selectorIjEEZZNS1_9scan_implILNS1_25lookback_scan_determinismE0ELb1ELb1ES3_PjS8_jN6hipcub16HIPCUB_304000_NS3SumEjEEDaPvRmT3_T4_T5_mT6_P12ihipStream_tbENKUlT_T0_E_clISt17integral_constantIbLb1EESP_EEDaSK_SL_EUlSK_E_NS1_11comp_targetILNS1_3genE3ELNS1_11target_archE908ELNS1_3gpuE7ELNS1_3repE0EEENS1_30default_config_static_selectorELNS0_4arch9wavefront6targetE0EEEvT1_.uses_vcc, 0
	.set _ZN7rocprim17ROCPRIM_400000_NS6detail17trampoline_kernelINS0_14default_configENS1_20scan_config_selectorIjEEZZNS1_9scan_implILNS1_25lookback_scan_determinismE0ELb1ELb1ES3_PjS8_jN6hipcub16HIPCUB_304000_NS3SumEjEEDaPvRmT3_T4_T5_mT6_P12ihipStream_tbENKUlT_T0_E_clISt17integral_constantIbLb1EESP_EEDaSK_SL_EUlSK_E_NS1_11comp_targetILNS1_3genE3ELNS1_11target_archE908ELNS1_3gpuE7ELNS1_3repE0EEENS1_30default_config_static_selectorELNS0_4arch9wavefront6targetE0EEEvT1_.uses_flat_scratch, 0
	.set _ZN7rocprim17ROCPRIM_400000_NS6detail17trampoline_kernelINS0_14default_configENS1_20scan_config_selectorIjEEZZNS1_9scan_implILNS1_25lookback_scan_determinismE0ELb1ELb1ES3_PjS8_jN6hipcub16HIPCUB_304000_NS3SumEjEEDaPvRmT3_T4_T5_mT6_P12ihipStream_tbENKUlT_T0_E_clISt17integral_constantIbLb1EESP_EEDaSK_SL_EUlSK_E_NS1_11comp_targetILNS1_3genE3ELNS1_11target_archE908ELNS1_3gpuE7ELNS1_3repE0EEENS1_30default_config_static_selectorELNS0_4arch9wavefront6targetE0EEEvT1_.has_dyn_sized_stack, 0
	.set _ZN7rocprim17ROCPRIM_400000_NS6detail17trampoline_kernelINS0_14default_configENS1_20scan_config_selectorIjEEZZNS1_9scan_implILNS1_25lookback_scan_determinismE0ELb1ELb1ES3_PjS8_jN6hipcub16HIPCUB_304000_NS3SumEjEEDaPvRmT3_T4_T5_mT6_P12ihipStream_tbENKUlT_T0_E_clISt17integral_constantIbLb1EESP_EEDaSK_SL_EUlSK_E_NS1_11comp_targetILNS1_3genE3ELNS1_11target_archE908ELNS1_3gpuE7ELNS1_3repE0EEENS1_30default_config_static_selectorELNS0_4arch9wavefront6targetE0EEEvT1_.has_recursion, 0
	.set _ZN7rocprim17ROCPRIM_400000_NS6detail17trampoline_kernelINS0_14default_configENS1_20scan_config_selectorIjEEZZNS1_9scan_implILNS1_25lookback_scan_determinismE0ELb1ELb1ES3_PjS8_jN6hipcub16HIPCUB_304000_NS3SumEjEEDaPvRmT3_T4_T5_mT6_P12ihipStream_tbENKUlT_T0_E_clISt17integral_constantIbLb1EESP_EEDaSK_SL_EUlSK_E_NS1_11comp_targetILNS1_3genE3ELNS1_11target_archE908ELNS1_3gpuE7ELNS1_3repE0EEENS1_30default_config_static_selectorELNS0_4arch9wavefront6targetE0EEEvT1_.has_indirect_call, 0
	.section	.AMDGPU.csdata,"",@progbits
; Kernel info:
; codeLenInByte = 0
; TotalNumSgprs: 0
; NumVgprs: 0
; ScratchSize: 0
; MemoryBound: 0
; FloatMode: 240
; IeeeMode: 1
; LDSByteSize: 0 bytes/workgroup (compile time only)
; SGPRBlocks: 0
; VGPRBlocks: 0
; NumSGPRsForWavesPerEU: 1
; NumVGPRsForWavesPerEU: 1
; NamedBarCnt: 0
; Occupancy: 16
; WaveLimiterHint : 0
; COMPUTE_PGM_RSRC2:SCRATCH_EN: 0
; COMPUTE_PGM_RSRC2:USER_SGPR: 2
; COMPUTE_PGM_RSRC2:TRAP_HANDLER: 0
; COMPUTE_PGM_RSRC2:TGID_X_EN: 1
; COMPUTE_PGM_RSRC2:TGID_Y_EN: 0
; COMPUTE_PGM_RSRC2:TGID_Z_EN: 0
; COMPUTE_PGM_RSRC2:TIDIG_COMP_CNT: 0
	.section	.text._ZN7rocprim17ROCPRIM_400000_NS6detail17trampoline_kernelINS0_14default_configENS1_20scan_config_selectorIjEEZZNS1_9scan_implILNS1_25lookback_scan_determinismE0ELb1ELb1ES3_PjS8_jN6hipcub16HIPCUB_304000_NS3SumEjEEDaPvRmT3_T4_T5_mT6_P12ihipStream_tbENKUlT_T0_E_clISt17integral_constantIbLb1EESP_EEDaSK_SL_EUlSK_E_NS1_11comp_targetILNS1_3genE2ELNS1_11target_archE906ELNS1_3gpuE6ELNS1_3repE0EEENS1_30default_config_static_selectorELNS0_4arch9wavefront6targetE0EEEvT1_,"axG",@progbits,_ZN7rocprim17ROCPRIM_400000_NS6detail17trampoline_kernelINS0_14default_configENS1_20scan_config_selectorIjEEZZNS1_9scan_implILNS1_25lookback_scan_determinismE0ELb1ELb1ES3_PjS8_jN6hipcub16HIPCUB_304000_NS3SumEjEEDaPvRmT3_T4_T5_mT6_P12ihipStream_tbENKUlT_T0_E_clISt17integral_constantIbLb1EESP_EEDaSK_SL_EUlSK_E_NS1_11comp_targetILNS1_3genE2ELNS1_11target_archE906ELNS1_3gpuE6ELNS1_3repE0EEENS1_30default_config_static_selectorELNS0_4arch9wavefront6targetE0EEEvT1_,comdat
	.protected	_ZN7rocprim17ROCPRIM_400000_NS6detail17trampoline_kernelINS0_14default_configENS1_20scan_config_selectorIjEEZZNS1_9scan_implILNS1_25lookback_scan_determinismE0ELb1ELb1ES3_PjS8_jN6hipcub16HIPCUB_304000_NS3SumEjEEDaPvRmT3_T4_T5_mT6_P12ihipStream_tbENKUlT_T0_E_clISt17integral_constantIbLb1EESP_EEDaSK_SL_EUlSK_E_NS1_11comp_targetILNS1_3genE2ELNS1_11target_archE906ELNS1_3gpuE6ELNS1_3repE0EEENS1_30default_config_static_selectorELNS0_4arch9wavefront6targetE0EEEvT1_ ; -- Begin function _ZN7rocprim17ROCPRIM_400000_NS6detail17trampoline_kernelINS0_14default_configENS1_20scan_config_selectorIjEEZZNS1_9scan_implILNS1_25lookback_scan_determinismE0ELb1ELb1ES3_PjS8_jN6hipcub16HIPCUB_304000_NS3SumEjEEDaPvRmT3_T4_T5_mT6_P12ihipStream_tbENKUlT_T0_E_clISt17integral_constantIbLb1EESP_EEDaSK_SL_EUlSK_E_NS1_11comp_targetILNS1_3genE2ELNS1_11target_archE906ELNS1_3gpuE6ELNS1_3repE0EEENS1_30default_config_static_selectorELNS0_4arch9wavefront6targetE0EEEvT1_
	.globl	_ZN7rocprim17ROCPRIM_400000_NS6detail17trampoline_kernelINS0_14default_configENS1_20scan_config_selectorIjEEZZNS1_9scan_implILNS1_25lookback_scan_determinismE0ELb1ELb1ES3_PjS8_jN6hipcub16HIPCUB_304000_NS3SumEjEEDaPvRmT3_T4_T5_mT6_P12ihipStream_tbENKUlT_T0_E_clISt17integral_constantIbLb1EESP_EEDaSK_SL_EUlSK_E_NS1_11comp_targetILNS1_3genE2ELNS1_11target_archE906ELNS1_3gpuE6ELNS1_3repE0EEENS1_30default_config_static_selectorELNS0_4arch9wavefront6targetE0EEEvT1_
	.p2align	8
	.type	_ZN7rocprim17ROCPRIM_400000_NS6detail17trampoline_kernelINS0_14default_configENS1_20scan_config_selectorIjEEZZNS1_9scan_implILNS1_25lookback_scan_determinismE0ELb1ELb1ES3_PjS8_jN6hipcub16HIPCUB_304000_NS3SumEjEEDaPvRmT3_T4_T5_mT6_P12ihipStream_tbENKUlT_T0_E_clISt17integral_constantIbLb1EESP_EEDaSK_SL_EUlSK_E_NS1_11comp_targetILNS1_3genE2ELNS1_11target_archE906ELNS1_3gpuE6ELNS1_3repE0EEENS1_30default_config_static_selectorELNS0_4arch9wavefront6targetE0EEEvT1_,@function
_ZN7rocprim17ROCPRIM_400000_NS6detail17trampoline_kernelINS0_14default_configENS1_20scan_config_selectorIjEEZZNS1_9scan_implILNS1_25lookback_scan_determinismE0ELb1ELb1ES3_PjS8_jN6hipcub16HIPCUB_304000_NS3SumEjEEDaPvRmT3_T4_T5_mT6_P12ihipStream_tbENKUlT_T0_E_clISt17integral_constantIbLb1EESP_EEDaSK_SL_EUlSK_E_NS1_11comp_targetILNS1_3genE2ELNS1_11target_archE906ELNS1_3gpuE6ELNS1_3repE0EEENS1_30default_config_static_selectorELNS0_4arch9wavefront6targetE0EEEvT1_: ; @_ZN7rocprim17ROCPRIM_400000_NS6detail17trampoline_kernelINS0_14default_configENS1_20scan_config_selectorIjEEZZNS1_9scan_implILNS1_25lookback_scan_determinismE0ELb1ELb1ES3_PjS8_jN6hipcub16HIPCUB_304000_NS3SumEjEEDaPvRmT3_T4_T5_mT6_P12ihipStream_tbENKUlT_T0_E_clISt17integral_constantIbLb1EESP_EEDaSK_SL_EUlSK_E_NS1_11comp_targetILNS1_3genE2ELNS1_11target_archE906ELNS1_3gpuE6ELNS1_3repE0EEENS1_30default_config_static_selectorELNS0_4arch9wavefront6targetE0EEEvT1_
; %bb.0:
	.section	.rodata,"a",@progbits
	.p2align	6, 0x0
	.amdhsa_kernel _ZN7rocprim17ROCPRIM_400000_NS6detail17trampoline_kernelINS0_14default_configENS1_20scan_config_selectorIjEEZZNS1_9scan_implILNS1_25lookback_scan_determinismE0ELb1ELb1ES3_PjS8_jN6hipcub16HIPCUB_304000_NS3SumEjEEDaPvRmT3_T4_T5_mT6_P12ihipStream_tbENKUlT_T0_E_clISt17integral_constantIbLb1EESP_EEDaSK_SL_EUlSK_E_NS1_11comp_targetILNS1_3genE2ELNS1_11target_archE906ELNS1_3gpuE6ELNS1_3repE0EEENS1_30default_config_static_selectorELNS0_4arch9wavefront6targetE0EEEvT1_
		.amdhsa_group_segment_fixed_size 0
		.amdhsa_private_segment_fixed_size 0
		.amdhsa_kernarg_size 96
		.amdhsa_user_sgpr_count 2
		.amdhsa_user_sgpr_dispatch_ptr 0
		.amdhsa_user_sgpr_queue_ptr 0
		.amdhsa_user_sgpr_kernarg_segment_ptr 1
		.amdhsa_user_sgpr_dispatch_id 0
		.amdhsa_user_sgpr_kernarg_preload_length 0
		.amdhsa_user_sgpr_kernarg_preload_offset 0
		.amdhsa_user_sgpr_private_segment_size 0
		.amdhsa_wavefront_size32 1
		.amdhsa_uses_dynamic_stack 0
		.amdhsa_enable_private_segment 0
		.amdhsa_system_sgpr_workgroup_id_x 1
		.amdhsa_system_sgpr_workgroup_id_y 0
		.amdhsa_system_sgpr_workgroup_id_z 0
		.amdhsa_system_sgpr_workgroup_info 0
		.amdhsa_system_vgpr_workitem_id 0
		.amdhsa_next_free_vgpr 1
		.amdhsa_next_free_sgpr 1
		.amdhsa_named_barrier_count 0
		.amdhsa_reserve_vcc 0
		.amdhsa_float_round_mode_32 0
		.amdhsa_float_round_mode_16_64 0
		.amdhsa_float_denorm_mode_32 3
		.amdhsa_float_denorm_mode_16_64 3
		.amdhsa_fp16_overflow 0
		.amdhsa_memory_ordered 1
		.amdhsa_forward_progress 1
		.amdhsa_inst_pref_size 0
		.amdhsa_round_robin_scheduling 0
		.amdhsa_exception_fp_ieee_invalid_op 0
		.amdhsa_exception_fp_denorm_src 0
		.amdhsa_exception_fp_ieee_div_zero 0
		.amdhsa_exception_fp_ieee_overflow 0
		.amdhsa_exception_fp_ieee_underflow 0
		.amdhsa_exception_fp_ieee_inexact 0
		.amdhsa_exception_int_div_zero 0
	.end_amdhsa_kernel
	.section	.text._ZN7rocprim17ROCPRIM_400000_NS6detail17trampoline_kernelINS0_14default_configENS1_20scan_config_selectorIjEEZZNS1_9scan_implILNS1_25lookback_scan_determinismE0ELb1ELb1ES3_PjS8_jN6hipcub16HIPCUB_304000_NS3SumEjEEDaPvRmT3_T4_T5_mT6_P12ihipStream_tbENKUlT_T0_E_clISt17integral_constantIbLb1EESP_EEDaSK_SL_EUlSK_E_NS1_11comp_targetILNS1_3genE2ELNS1_11target_archE906ELNS1_3gpuE6ELNS1_3repE0EEENS1_30default_config_static_selectorELNS0_4arch9wavefront6targetE0EEEvT1_,"axG",@progbits,_ZN7rocprim17ROCPRIM_400000_NS6detail17trampoline_kernelINS0_14default_configENS1_20scan_config_selectorIjEEZZNS1_9scan_implILNS1_25lookback_scan_determinismE0ELb1ELb1ES3_PjS8_jN6hipcub16HIPCUB_304000_NS3SumEjEEDaPvRmT3_T4_T5_mT6_P12ihipStream_tbENKUlT_T0_E_clISt17integral_constantIbLb1EESP_EEDaSK_SL_EUlSK_E_NS1_11comp_targetILNS1_3genE2ELNS1_11target_archE906ELNS1_3gpuE6ELNS1_3repE0EEENS1_30default_config_static_selectorELNS0_4arch9wavefront6targetE0EEEvT1_,comdat
.Lfunc_end33:
	.size	_ZN7rocprim17ROCPRIM_400000_NS6detail17trampoline_kernelINS0_14default_configENS1_20scan_config_selectorIjEEZZNS1_9scan_implILNS1_25lookback_scan_determinismE0ELb1ELb1ES3_PjS8_jN6hipcub16HIPCUB_304000_NS3SumEjEEDaPvRmT3_T4_T5_mT6_P12ihipStream_tbENKUlT_T0_E_clISt17integral_constantIbLb1EESP_EEDaSK_SL_EUlSK_E_NS1_11comp_targetILNS1_3genE2ELNS1_11target_archE906ELNS1_3gpuE6ELNS1_3repE0EEENS1_30default_config_static_selectorELNS0_4arch9wavefront6targetE0EEEvT1_, .Lfunc_end33-_ZN7rocprim17ROCPRIM_400000_NS6detail17trampoline_kernelINS0_14default_configENS1_20scan_config_selectorIjEEZZNS1_9scan_implILNS1_25lookback_scan_determinismE0ELb1ELb1ES3_PjS8_jN6hipcub16HIPCUB_304000_NS3SumEjEEDaPvRmT3_T4_T5_mT6_P12ihipStream_tbENKUlT_T0_E_clISt17integral_constantIbLb1EESP_EEDaSK_SL_EUlSK_E_NS1_11comp_targetILNS1_3genE2ELNS1_11target_archE906ELNS1_3gpuE6ELNS1_3repE0EEENS1_30default_config_static_selectorELNS0_4arch9wavefront6targetE0EEEvT1_
                                        ; -- End function
	.set _ZN7rocprim17ROCPRIM_400000_NS6detail17trampoline_kernelINS0_14default_configENS1_20scan_config_selectorIjEEZZNS1_9scan_implILNS1_25lookback_scan_determinismE0ELb1ELb1ES3_PjS8_jN6hipcub16HIPCUB_304000_NS3SumEjEEDaPvRmT3_T4_T5_mT6_P12ihipStream_tbENKUlT_T0_E_clISt17integral_constantIbLb1EESP_EEDaSK_SL_EUlSK_E_NS1_11comp_targetILNS1_3genE2ELNS1_11target_archE906ELNS1_3gpuE6ELNS1_3repE0EEENS1_30default_config_static_selectorELNS0_4arch9wavefront6targetE0EEEvT1_.num_vgpr, 0
	.set _ZN7rocprim17ROCPRIM_400000_NS6detail17trampoline_kernelINS0_14default_configENS1_20scan_config_selectorIjEEZZNS1_9scan_implILNS1_25lookback_scan_determinismE0ELb1ELb1ES3_PjS8_jN6hipcub16HIPCUB_304000_NS3SumEjEEDaPvRmT3_T4_T5_mT6_P12ihipStream_tbENKUlT_T0_E_clISt17integral_constantIbLb1EESP_EEDaSK_SL_EUlSK_E_NS1_11comp_targetILNS1_3genE2ELNS1_11target_archE906ELNS1_3gpuE6ELNS1_3repE0EEENS1_30default_config_static_selectorELNS0_4arch9wavefront6targetE0EEEvT1_.num_agpr, 0
	.set _ZN7rocprim17ROCPRIM_400000_NS6detail17trampoline_kernelINS0_14default_configENS1_20scan_config_selectorIjEEZZNS1_9scan_implILNS1_25lookback_scan_determinismE0ELb1ELb1ES3_PjS8_jN6hipcub16HIPCUB_304000_NS3SumEjEEDaPvRmT3_T4_T5_mT6_P12ihipStream_tbENKUlT_T0_E_clISt17integral_constantIbLb1EESP_EEDaSK_SL_EUlSK_E_NS1_11comp_targetILNS1_3genE2ELNS1_11target_archE906ELNS1_3gpuE6ELNS1_3repE0EEENS1_30default_config_static_selectorELNS0_4arch9wavefront6targetE0EEEvT1_.numbered_sgpr, 0
	.set _ZN7rocprim17ROCPRIM_400000_NS6detail17trampoline_kernelINS0_14default_configENS1_20scan_config_selectorIjEEZZNS1_9scan_implILNS1_25lookback_scan_determinismE0ELb1ELb1ES3_PjS8_jN6hipcub16HIPCUB_304000_NS3SumEjEEDaPvRmT3_T4_T5_mT6_P12ihipStream_tbENKUlT_T0_E_clISt17integral_constantIbLb1EESP_EEDaSK_SL_EUlSK_E_NS1_11comp_targetILNS1_3genE2ELNS1_11target_archE906ELNS1_3gpuE6ELNS1_3repE0EEENS1_30default_config_static_selectorELNS0_4arch9wavefront6targetE0EEEvT1_.num_named_barrier, 0
	.set _ZN7rocprim17ROCPRIM_400000_NS6detail17trampoline_kernelINS0_14default_configENS1_20scan_config_selectorIjEEZZNS1_9scan_implILNS1_25lookback_scan_determinismE0ELb1ELb1ES3_PjS8_jN6hipcub16HIPCUB_304000_NS3SumEjEEDaPvRmT3_T4_T5_mT6_P12ihipStream_tbENKUlT_T0_E_clISt17integral_constantIbLb1EESP_EEDaSK_SL_EUlSK_E_NS1_11comp_targetILNS1_3genE2ELNS1_11target_archE906ELNS1_3gpuE6ELNS1_3repE0EEENS1_30default_config_static_selectorELNS0_4arch9wavefront6targetE0EEEvT1_.private_seg_size, 0
	.set _ZN7rocprim17ROCPRIM_400000_NS6detail17trampoline_kernelINS0_14default_configENS1_20scan_config_selectorIjEEZZNS1_9scan_implILNS1_25lookback_scan_determinismE0ELb1ELb1ES3_PjS8_jN6hipcub16HIPCUB_304000_NS3SumEjEEDaPvRmT3_T4_T5_mT6_P12ihipStream_tbENKUlT_T0_E_clISt17integral_constantIbLb1EESP_EEDaSK_SL_EUlSK_E_NS1_11comp_targetILNS1_3genE2ELNS1_11target_archE906ELNS1_3gpuE6ELNS1_3repE0EEENS1_30default_config_static_selectorELNS0_4arch9wavefront6targetE0EEEvT1_.uses_vcc, 0
	.set _ZN7rocprim17ROCPRIM_400000_NS6detail17trampoline_kernelINS0_14default_configENS1_20scan_config_selectorIjEEZZNS1_9scan_implILNS1_25lookback_scan_determinismE0ELb1ELb1ES3_PjS8_jN6hipcub16HIPCUB_304000_NS3SumEjEEDaPvRmT3_T4_T5_mT6_P12ihipStream_tbENKUlT_T0_E_clISt17integral_constantIbLb1EESP_EEDaSK_SL_EUlSK_E_NS1_11comp_targetILNS1_3genE2ELNS1_11target_archE906ELNS1_3gpuE6ELNS1_3repE0EEENS1_30default_config_static_selectorELNS0_4arch9wavefront6targetE0EEEvT1_.uses_flat_scratch, 0
	.set _ZN7rocprim17ROCPRIM_400000_NS6detail17trampoline_kernelINS0_14default_configENS1_20scan_config_selectorIjEEZZNS1_9scan_implILNS1_25lookback_scan_determinismE0ELb1ELb1ES3_PjS8_jN6hipcub16HIPCUB_304000_NS3SumEjEEDaPvRmT3_T4_T5_mT6_P12ihipStream_tbENKUlT_T0_E_clISt17integral_constantIbLb1EESP_EEDaSK_SL_EUlSK_E_NS1_11comp_targetILNS1_3genE2ELNS1_11target_archE906ELNS1_3gpuE6ELNS1_3repE0EEENS1_30default_config_static_selectorELNS0_4arch9wavefront6targetE0EEEvT1_.has_dyn_sized_stack, 0
	.set _ZN7rocprim17ROCPRIM_400000_NS6detail17trampoline_kernelINS0_14default_configENS1_20scan_config_selectorIjEEZZNS1_9scan_implILNS1_25lookback_scan_determinismE0ELb1ELb1ES3_PjS8_jN6hipcub16HIPCUB_304000_NS3SumEjEEDaPvRmT3_T4_T5_mT6_P12ihipStream_tbENKUlT_T0_E_clISt17integral_constantIbLb1EESP_EEDaSK_SL_EUlSK_E_NS1_11comp_targetILNS1_3genE2ELNS1_11target_archE906ELNS1_3gpuE6ELNS1_3repE0EEENS1_30default_config_static_selectorELNS0_4arch9wavefront6targetE0EEEvT1_.has_recursion, 0
	.set _ZN7rocprim17ROCPRIM_400000_NS6detail17trampoline_kernelINS0_14default_configENS1_20scan_config_selectorIjEEZZNS1_9scan_implILNS1_25lookback_scan_determinismE0ELb1ELb1ES3_PjS8_jN6hipcub16HIPCUB_304000_NS3SumEjEEDaPvRmT3_T4_T5_mT6_P12ihipStream_tbENKUlT_T0_E_clISt17integral_constantIbLb1EESP_EEDaSK_SL_EUlSK_E_NS1_11comp_targetILNS1_3genE2ELNS1_11target_archE906ELNS1_3gpuE6ELNS1_3repE0EEENS1_30default_config_static_selectorELNS0_4arch9wavefront6targetE0EEEvT1_.has_indirect_call, 0
	.section	.AMDGPU.csdata,"",@progbits
; Kernel info:
; codeLenInByte = 0
; TotalNumSgprs: 0
; NumVgprs: 0
; ScratchSize: 0
; MemoryBound: 0
; FloatMode: 240
; IeeeMode: 1
; LDSByteSize: 0 bytes/workgroup (compile time only)
; SGPRBlocks: 0
; VGPRBlocks: 0
; NumSGPRsForWavesPerEU: 1
; NumVGPRsForWavesPerEU: 1
; NamedBarCnt: 0
; Occupancy: 16
; WaveLimiterHint : 0
; COMPUTE_PGM_RSRC2:SCRATCH_EN: 0
; COMPUTE_PGM_RSRC2:USER_SGPR: 2
; COMPUTE_PGM_RSRC2:TRAP_HANDLER: 0
; COMPUTE_PGM_RSRC2:TGID_X_EN: 1
; COMPUTE_PGM_RSRC2:TGID_Y_EN: 0
; COMPUTE_PGM_RSRC2:TGID_Z_EN: 0
; COMPUTE_PGM_RSRC2:TIDIG_COMP_CNT: 0
	.section	.text._ZN7rocprim17ROCPRIM_400000_NS6detail17trampoline_kernelINS0_14default_configENS1_20scan_config_selectorIjEEZZNS1_9scan_implILNS1_25lookback_scan_determinismE0ELb1ELb1ES3_PjS8_jN6hipcub16HIPCUB_304000_NS3SumEjEEDaPvRmT3_T4_T5_mT6_P12ihipStream_tbENKUlT_T0_E_clISt17integral_constantIbLb1EESP_EEDaSK_SL_EUlSK_E_NS1_11comp_targetILNS1_3genE10ELNS1_11target_archE1201ELNS1_3gpuE5ELNS1_3repE0EEENS1_30default_config_static_selectorELNS0_4arch9wavefront6targetE0EEEvT1_,"axG",@progbits,_ZN7rocprim17ROCPRIM_400000_NS6detail17trampoline_kernelINS0_14default_configENS1_20scan_config_selectorIjEEZZNS1_9scan_implILNS1_25lookback_scan_determinismE0ELb1ELb1ES3_PjS8_jN6hipcub16HIPCUB_304000_NS3SumEjEEDaPvRmT3_T4_T5_mT6_P12ihipStream_tbENKUlT_T0_E_clISt17integral_constantIbLb1EESP_EEDaSK_SL_EUlSK_E_NS1_11comp_targetILNS1_3genE10ELNS1_11target_archE1201ELNS1_3gpuE5ELNS1_3repE0EEENS1_30default_config_static_selectorELNS0_4arch9wavefront6targetE0EEEvT1_,comdat
	.protected	_ZN7rocprim17ROCPRIM_400000_NS6detail17trampoline_kernelINS0_14default_configENS1_20scan_config_selectorIjEEZZNS1_9scan_implILNS1_25lookback_scan_determinismE0ELb1ELb1ES3_PjS8_jN6hipcub16HIPCUB_304000_NS3SumEjEEDaPvRmT3_T4_T5_mT6_P12ihipStream_tbENKUlT_T0_E_clISt17integral_constantIbLb1EESP_EEDaSK_SL_EUlSK_E_NS1_11comp_targetILNS1_3genE10ELNS1_11target_archE1201ELNS1_3gpuE5ELNS1_3repE0EEENS1_30default_config_static_selectorELNS0_4arch9wavefront6targetE0EEEvT1_ ; -- Begin function _ZN7rocprim17ROCPRIM_400000_NS6detail17trampoline_kernelINS0_14default_configENS1_20scan_config_selectorIjEEZZNS1_9scan_implILNS1_25lookback_scan_determinismE0ELb1ELb1ES3_PjS8_jN6hipcub16HIPCUB_304000_NS3SumEjEEDaPvRmT3_T4_T5_mT6_P12ihipStream_tbENKUlT_T0_E_clISt17integral_constantIbLb1EESP_EEDaSK_SL_EUlSK_E_NS1_11comp_targetILNS1_3genE10ELNS1_11target_archE1201ELNS1_3gpuE5ELNS1_3repE0EEENS1_30default_config_static_selectorELNS0_4arch9wavefront6targetE0EEEvT1_
	.globl	_ZN7rocprim17ROCPRIM_400000_NS6detail17trampoline_kernelINS0_14default_configENS1_20scan_config_selectorIjEEZZNS1_9scan_implILNS1_25lookback_scan_determinismE0ELb1ELb1ES3_PjS8_jN6hipcub16HIPCUB_304000_NS3SumEjEEDaPvRmT3_T4_T5_mT6_P12ihipStream_tbENKUlT_T0_E_clISt17integral_constantIbLb1EESP_EEDaSK_SL_EUlSK_E_NS1_11comp_targetILNS1_3genE10ELNS1_11target_archE1201ELNS1_3gpuE5ELNS1_3repE0EEENS1_30default_config_static_selectorELNS0_4arch9wavefront6targetE0EEEvT1_
	.p2align	8
	.type	_ZN7rocprim17ROCPRIM_400000_NS6detail17trampoline_kernelINS0_14default_configENS1_20scan_config_selectorIjEEZZNS1_9scan_implILNS1_25lookback_scan_determinismE0ELb1ELb1ES3_PjS8_jN6hipcub16HIPCUB_304000_NS3SumEjEEDaPvRmT3_T4_T5_mT6_P12ihipStream_tbENKUlT_T0_E_clISt17integral_constantIbLb1EESP_EEDaSK_SL_EUlSK_E_NS1_11comp_targetILNS1_3genE10ELNS1_11target_archE1201ELNS1_3gpuE5ELNS1_3repE0EEENS1_30default_config_static_selectorELNS0_4arch9wavefront6targetE0EEEvT1_,@function
_ZN7rocprim17ROCPRIM_400000_NS6detail17trampoline_kernelINS0_14default_configENS1_20scan_config_selectorIjEEZZNS1_9scan_implILNS1_25lookback_scan_determinismE0ELb1ELb1ES3_PjS8_jN6hipcub16HIPCUB_304000_NS3SumEjEEDaPvRmT3_T4_T5_mT6_P12ihipStream_tbENKUlT_T0_E_clISt17integral_constantIbLb1EESP_EEDaSK_SL_EUlSK_E_NS1_11comp_targetILNS1_3genE10ELNS1_11target_archE1201ELNS1_3gpuE5ELNS1_3repE0EEENS1_30default_config_static_selectorELNS0_4arch9wavefront6targetE0EEEvT1_: ; @_ZN7rocprim17ROCPRIM_400000_NS6detail17trampoline_kernelINS0_14default_configENS1_20scan_config_selectorIjEEZZNS1_9scan_implILNS1_25lookback_scan_determinismE0ELb1ELb1ES3_PjS8_jN6hipcub16HIPCUB_304000_NS3SumEjEEDaPvRmT3_T4_T5_mT6_P12ihipStream_tbENKUlT_T0_E_clISt17integral_constantIbLb1EESP_EEDaSK_SL_EUlSK_E_NS1_11comp_targetILNS1_3genE10ELNS1_11target_archE1201ELNS1_3gpuE5ELNS1_3repE0EEENS1_30default_config_static_selectorELNS0_4arch9wavefront6targetE0EEEvT1_
; %bb.0:
	.section	.rodata,"a",@progbits
	.p2align	6, 0x0
	.amdhsa_kernel _ZN7rocprim17ROCPRIM_400000_NS6detail17trampoline_kernelINS0_14default_configENS1_20scan_config_selectorIjEEZZNS1_9scan_implILNS1_25lookback_scan_determinismE0ELb1ELb1ES3_PjS8_jN6hipcub16HIPCUB_304000_NS3SumEjEEDaPvRmT3_T4_T5_mT6_P12ihipStream_tbENKUlT_T0_E_clISt17integral_constantIbLb1EESP_EEDaSK_SL_EUlSK_E_NS1_11comp_targetILNS1_3genE10ELNS1_11target_archE1201ELNS1_3gpuE5ELNS1_3repE0EEENS1_30default_config_static_selectorELNS0_4arch9wavefront6targetE0EEEvT1_
		.amdhsa_group_segment_fixed_size 0
		.amdhsa_private_segment_fixed_size 0
		.amdhsa_kernarg_size 96
		.amdhsa_user_sgpr_count 2
		.amdhsa_user_sgpr_dispatch_ptr 0
		.amdhsa_user_sgpr_queue_ptr 0
		.amdhsa_user_sgpr_kernarg_segment_ptr 1
		.amdhsa_user_sgpr_dispatch_id 0
		.amdhsa_user_sgpr_kernarg_preload_length 0
		.amdhsa_user_sgpr_kernarg_preload_offset 0
		.amdhsa_user_sgpr_private_segment_size 0
		.amdhsa_wavefront_size32 1
		.amdhsa_uses_dynamic_stack 0
		.amdhsa_enable_private_segment 0
		.amdhsa_system_sgpr_workgroup_id_x 1
		.amdhsa_system_sgpr_workgroup_id_y 0
		.amdhsa_system_sgpr_workgroup_id_z 0
		.amdhsa_system_sgpr_workgroup_info 0
		.amdhsa_system_vgpr_workitem_id 0
		.amdhsa_next_free_vgpr 1
		.amdhsa_next_free_sgpr 1
		.amdhsa_named_barrier_count 0
		.amdhsa_reserve_vcc 0
		.amdhsa_float_round_mode_32 0
		.amdhsa_float_round_mode_16_64 0
		.amdhsa_float_denorm_mode_32 3
		.amdhsa_float_denorm_mode_16_64 3
		.amdhsa_fp16_overflow 0
		.amdhsa_memory_ordered 1
		.amdhsa_forward_progress 1
		.amdhsa_inst_pref_size 0
		.amdhsa_round_robin_scheduling 0
		.amdhsa_exception_fp_ieee_invalid_op 0
		.amdhsa_exception_fp_denorm_src 0
		.amdhsa_exception_fp_ieee_div_zero 0
		.amdhsa_exception_fp_ieee_overflow 0
		.amdhsa_exception_fp_ieee_underflow 0
		.amdhsa_exception_fp_ieee_inexact 0
		.amdhsa_exception_int_div_zero 0
	.end_amdhsa_kernel
	.section	.text._ZN7rocprim17ROCPRIM_400000_NS6detail17trampoline_kernelINS0_14default_configENS1_20scan_config_selectorIjEEZZNS1_9scan_implILNS1_25lookback_scan_determinismE0ELb1ELb1ES3_PjS8_jN6hipcub16HIPCUB_304000_NS3SumEjEEDaPvRmT3_T4_T5_mT6_P12ihipStream_tbENKUlT_T0_E_clISt17integral_constantIbLb1EESP_EEDaSK_SL_EUlSK_E_NS1_11comp_targetILNS1_3genE10ELNS1_11target_archE1201ELNS1_3gpuE5ELNS1_3repE0EEENS1_30default_config_static_selectorELNS0_4arch9wavefront6targetE0EEEvT1_,"axG",@progbits,_ZN7rocprim17ROCPRIM_400000_NS6detail17trampoline_kernelINS0_14default_configENS1_20scan_config_selectorIjEEZZNS1_9scan_implILNS1_25lookback_scan_determinismE0ELb1ELb1ES3_PjS8_jN6hipcub16HIPCUB_304000_NS3SumEjEEDaPvRmT3_T4_T5_mT6_P12ihipStream_tbENKUlT_T0_E_clISt17integral_constantIbLb1EESP_EEDaSK_SL_EUlSK_E_NS1_11comp_targetILNS1_3genE10ELNS1_11target_archE1201ELNS1_3gpuE5ELNS1_3repE0EEENS1_30default_config_static_selectorELNS0_4arch9wavefront6targetE0EEEvT1_,comdat
.Lfunc_end34:
	.size	_ZN7rocprim17ROCPRIM_400000_NS6detail17trampoline_kernelINS0_14default_configENS1_20scan_config_selectorIjEEZZNS1_9scan_implILNS1_25lookback_scan_determinismE0ELb1ELb1ES3_PjS8_jN6hipcub16HIPCUB_304000_NS3SumEjEEDaPvRmT3_T4_T5_mT6_P12ihipStream_tbENKUlT_T0_E_clISt17integral_constantIbLb1EESP_EEDaSK_SL_EUlSK_E_NS1_11comp_targetILNS1_3genE10ELNS1_11target_archE1201ELNS1_3gpuE5ELNS1_3repE0EEENS1_30default_config_static_selectorELNS0_4arch9wavefront6targetE0EEEvT1_, .Lfunc_end34-_ZN7rocprim17ROCPRIM_400000_NS6detail17trampoline_kernelINS0_14default_configENS1_20scan_config_selectorIjEEZZNS1_9scan_implILNS1_25lookback_scan_determinismE0ELb1ELb1ES3_PjS8_jN6hipcub16HIPCUB_304000_NS3SumEjEEDaPvRmT3_T4_T5_mT6_P12ihipStream_tbENKUlT_T0_E_clISt17integral_constantIbLb1EESP_EEDaSK_SL_EUlSK_E_NS1_11comp_targetILNS1_3genE10ELNS1_11target_archE1201ELNS1_3gpuE5ELNS1_3repE0EEENS1_30default_config_static_selectorELNS0_4arch9wavefront6targetE0EEEvT1_
                                        ; -- End function
	.set _ZN7rocprim17ROCPRIM_400000_NS6detail17trampoline_kernelINS0_14default_configENS1_20scan_config_selectorIjEEZZNS1_9scan_implILNS1_25lookback_scan_determinismE0ELb1ELb1ES3_PjS8_jN6hipcub16HIPCUB_304000_NS3SumEjEEDaPvRmT3_T4_T5_mT6_P12ihipStream_tbENKUlT_T0_E_clISt17integral_constantIbLb1EESP_EEDaSK_SL_EUlSK_E_NS1_11comp_targetILNS1_3genE10ELNS1_11target_archE1201ELNS1_3gpuE5ELNS1_3repE0EEENS1_30default_config_static_selectorELNS0_4arch9wavefront6targetE0EEEvT1_.num_vgpr, 0
	.set _ZN7rocprim17ROCPRIM_400000_NS6detail17trampoline_kernelINS0_14default_configENS1_20scan_config_selectorIjEEZZNS1_9scan_implILNS1_25lookback_scan_determinismE0ELb1ELb1ES3_PjS8_jN6hipcub16HIPCUB_304000_NS3SumEjEEDaPvRmT3_T4_T5_mT6_P12ihipStream_tbENKUlT_T0_E_clISt17integral_constantIbLb1EESP_EEDaSK_SL_EUlSK_E_NS1_11comp_targetILNS1_3genE10ELNS1_11target_archE1201ELNS1_3gpuE5ELNS1_3repE0EEENS1_30default_config_static_selectorELNS0_4arch9wavefront6targetE0EEEvT1_.num_agpr, 0
	.set _ZN7rocprim17ROCPRIM_400000_NS6detail17trampoline_kernelINS0_14default_configENS1_20scan_config_selectorIjEEZZNS1_9scan_implILNS1_25lookback_scan_determinismE0ELb1ELb1ES3_PjS8_jN6hipcub16HIPCUB_304000_NS3SumEjEEDaPvRmT3_T4_T5_mT6_P12ihipStream_tbENKUlT_T0_E_clISt17integral_constantIbLb1EESP_EEDaSK_SL_EUlSK_E_NS1_11comp_targetILNS1_3genE10ELNS1_11target_archE1201ELNS1_3gpuE5ELNS1_3repE0EEENS1_30default_config_static_selectorELNS0_4arch9wavefront6targetE0EEEvT1_.numbered_sgpr, 0
	.set _ZN7rocprim17ROCPRIM_400000_NS6detail17trampoline_kernelINS0_14default_configENS1_20scan_config_selectorIjEEZZNS1_9scan_implILNS1_25lookback_scan_determinismE0ELb1ELb1ES3_PjS8_jN6hipcub16HIPCUB_304000_NS3SumEjEEDaPvRmT3_T4_T5_mT6_P12ihipStream_tbENKUlT_T0_E_clISt17integral_constantIbLb1EESP_EEDaSK_SL_EUlSK_E_NS1_11comp_targetILNS1_3genE10ELNS1_11target_archE1201ELNS1_3gpuE5ELNS1_3repE0EEENS1_30default_config_static_selectorELNS0_4arch9wavefront6targetE0EEEvT1_.num_named_barrier, 0
	.set _ZN7rocprim17ROCPRIM_400000_NS6detail17trampoline_kernelINS0_14default_configENS1_20scan_config_selectorIjEEZZNS1_9scan_implILNS1_25lookback_scan_determinismE0ELb1ELb1ES3_PjS8_jN6hipcub16HIPCUB_304000_NS3SumEjEEDaPvRmT3_T4_T5_mT6_P12ihipStream_tbENKUlT_T0_E_clISt17integral_constantIbLb1EESP_EEDaSK_SL_EUlSK_E_NS1_11comp_targetILNS1_3genE10ELNS1_11target_archE1201ELNS1_3gpuE5ELNS1_3repE0EEENS1_30default_config_static_selectorELNS0_4arch9wavefront6targetE0EEEvT1_.private_seg_size, 0
	.set _ZN7rocprim17ROCPRIM_400000_NS6detail17trampoline_kernelINS0_14default_configENS1_20scan_config_selectorIjEEZZNS1_9scan_implILNS1_25lookback_scan_determinismE0ELb1ELb1ES3_PjS8_jN6hipcub16HIPCUB_304000_NS3SumEjEEDaPvRmT3_T4_T5_mT6_P12ihipStream_tbENKUlT_T0_E_clISt17integral_constantIbLb1EESP_EEDaSK_SL_EUlSK_E_NS1_11comp_targetILNS1_3genE10ELNS1_11target_archE1201ELNS1_3gpuE5ELNS1_3repE0EEENS1_30default_config_static_selectorELNS0_4arch9wavefront6targetE0EEEvT1_.uses_vcc, 0
	.set _ZN7rocprim17ROCPRIM_400000_NS6detail17trampoline_kernelINS0_14default_configENS1_20scan_config_selectorIjEEZZNS1_9scan_implILNS1_25lookback_scan_determinismE0ELb1ELb1ES3_PjS8_jN6hipcub16HIPCUB_304000_NS3SumEjEEDaPvRmT3_T4_T5_mT6_P12ihipStream_tbENKUlT_T0_E_clISt17integral_constantIbLb1EESP_EEDaSK_SL_EUlSK_E_NS1_11comp_targetILNS1_3genE10ELNS1_11target_archE1201ELNS1_3gpuE5ELNS1_3repE0EEENS1_30default_config_static_selectorELNS0_4arch9wavefront6targetE0EEEvT1_.uses_flat_scratch, 0
	.set _ZN7rocprim17ROCPRIM_400000_NS6detail17trampoline_kernelINS0_14default_configENS1_20scan_config_selectorIjEEZZNS1_9scan_implILNS1_25lookback_scan_determinismE0ELb1ELb1ES3_PjS8_jN6hipcub16HIPCUB_304000_NS3SumEjEEDaPvRmT3_T4_T5_mT6_P12ihipStream_tbENKUlT_T0_E_clISt17integral_constantIbLb1EESP_EEDaSK_SL_EUlSK_E_NS1_11comp_targetILNS1_3genE10ELNS1_11target_archE1201ELNS1_3gpuE5ELNS1_3repE0EEENS1_30default_config_static_selectorELNS0_4arch9wavefront6targetE0EEEvT1_.has_dyn_sized_stack, 0
	.set _ZN7rocprim17ROCPRIM_400000_NS6detail17trampoline_kernelINS0_14default_configENS1_20scan_config_selectorIjEEZZNS1_9scan_implILNS1_25lookback_scan_determinismE0ELb1ELb1ES3_PjS8_jN6hipcub16HIPCUB_304000_NS3SumEjEEDaPvRmT3_T4_T5_mT6_P12ihipStream_tbENKUlT_T0_E_clISt17integral_constantIbLb1EESP_EEDaSK_SL_EUlSK_E_NS1_11comp_targetILNS1_3genE10ELNS1_11target_archE1201ELNS1_3gpuE5ELNS1_3repE0EEENS1_30default_config_static_selectorELNS0_4arch9wavefront6targetE0EEEvT1_.has_recursion, 0
	.set _ZN7rocprim17ROCPRIM_400000_NS6detail17trampoline_kernelINS0_14default_configENS1_20scan_config_selectorIjEEZZNS1_9scan_implILNS1_25lookback_scan_determinismE0ELb1ELb1ES3_PjS8_jN6hipcub16HIPCUB_304000_NS3SumEjEEDaPvRmT3_T4_T5_mT6_P12ihipStream_tbENKUlT_T0_E_clISt17integral_constantIbLb1EESP_EEDaSK_SL_EUlSK_E_NS1_11comp_targetILNS1_3genE10ELNS1_11target_archE1201ELNS1_3gpuE5ELNS1_3repE0EEENS1_30default_config_static_selectorELNS0_4arch9wavefront6targetE0EEEvT1_.has_indirect_call, 0
	.section	.AMDGPU.csdata,"",@progbits
; Kernel info:
; codeLenInByte = 0
; TotalNumSgprs: 0
; NumVgprs: 0
; ScratchSize: 0
; MemoryBound: 0
; FloatMode: 240
; IeeeMode: 1
; LDSByteSize: 0 bytes/workgroup (compile time only)
; SGPRBlocks: 0
; VGPRBlocks: 0
; NumSGPRsForWavesPerEU: 1
; NumVGPRsForWavesPerEU: 1
; NamedBarCnt: 0
; Occupancy: 16
; WaveLimiterHint : 0
; COMPUTE_PGM_RSRC2:SCRATCH_EN: 0
; COMPUTE_PGM_RSRC2:USER_SGPR: 2
; COMPUTE_PGM_RSRC2:TRAP_HANDLER: 0
; COMPUTE_PGM_RSRC2:TGID_X_EN: 1
; COMPUTE_PGM_RSRC2:TGID_Y_EN: 0
; COMPUTE_PGM_RSRC2:TGID_Z_EN: 0
; COMPUTE_PGM_RSRC2:TIDIG_COMP_CNT: 0
	.section	.text._ZN7rocprim17ROCPRIM_400000_NS6detail17trampoline_kernelINS0_14default_configENS1_20scan_config_selectorIjEEZZNS1_9scan_implILNS1_25lookback_scan_determinismE0ELb1ELb1ES3_PjS8_jN6hipcub16HIPCUB_304000_NS3SumEjEEDaPvRmT3_T4_T5_mT6_P12ihipStream_tbENKUlT_T0_E_clISt17integral_constantIbLb1EESP_EEDaSK_SL_EUlSK_E_NS1_11comp_targetILNS1_3genE10ELNS1_11target_archE1200ELNS1_3gpuE4ELNS1_3repE0EEENS1_30default_config_static_selectorELNS0_4arch9wavefront6targetE0EEEvT1_,"axG",@progbits,_ZN7rocprim17ROCPRIM_400000_NS6detail17trampoline_kernelINS0_14default_configENS1_20scan_config_selectorIjEEZZNS1_9scan_implILNS1_25lookback_scan_determinismE0ELb1ELb1ES3_PjS8_jN6hipcub16HIPCUB_304000_NS3SumEjEEDaPvRmT3_T4_T5_mT6_P12ihipStream_tbENKUlT_T0_E_clISt17integral_constantIbLb1EESP_EEDaSK_SL_EUlSK_E_NS1_11comp_targetILNS1_3genE10ELNS1_11target_archE1200ELNS1_3gpuE4ELNS1_3repE0EEENS1_30default_config_static_selectorELNS0_4arch9wavefront6targetE0EEEvT1_,comdat
	.protected	_ZN7rocprim17ROCPRIM_400000_NS6detail17trampoline_kernelINS0_14default_configENS1_20scan_config_selectorIjEEZZNS1_9scan_implILNS1_25lookback_scan_determinismE0ELb1ELb1ES3_PjS8_jN6hipcub16HIPCUB_304000_NS3SumEjEEDaPvRmT3_T4_T5_mT6_P12ihipStream_tbENKUlT_T0_E_clISt17integral_constantIbLb1EESP_EEDaSK_SL_EUlSK_E_NS1_11comp_targetILNS1_3genE10ELNS1_11target_archE1200ELNS1_3gpuE4ELNS1_3repE0EEENS1_30default_config_static_selectorELNS0_4arch9wavefront6targetE0EEEvT1_ ; -- Begin function _ZN7rocprim17ROCPRIM_400000_NS6detail17trampoline_kernelINS0_14default_configENS1_20scan_config_selectorIjEEZZNS1_9scan_implILNS1_25lookback_scan_determinismE0ELb1ELb1ES3_PjS8_jN6hipcub16HIPCUB_304000_NS3SumEjEEDaPvRmT3_T4_T5_mT6_P12ihipStream_tbENKUlT_T0_E_clISt17integral_constantIbLb1EESP_EEDaSK_SL_EUlSK_E_NS1_11comp_targetILNS1_3genE10ELNS1_11target_archE1200ELNS1_3gpuE4ELNS1_3repE0EEENS1_30default_config_static_selectorELNS0_4arch9wavefront6targetE0EEEvT1_
	.globl	_ZN7rocprim17ROCPRIM_400000_NS6detail17trampoline_kernelINS0_14default_configENS1_20scan_config_selectorIjEEZZNS1_9scan_implILNS1_25lookback_scan_determinismE0ELb1ELb1ES3_PjS8_jN6hipcub16HIPCUB_304000_NS3SumEjEEDaPvRmT3_T4_T5_mT6_P12ihipStream_tbENKUlT_T0_E_clISt17integral_constantIbLb1EESP_EEDaSK_SL_EUlSK_E_NS1_11comp_targetILNS1_3genE10ELNS1_11target_archE1200ELNS1_3gpuE4ELNS1_3repE0EEENS1_30default_config_static_selectorELNS0_4arch9wavefront6targetE0EEEvT1_
	.p2align	8
	.type	_ZN7rocprim17ROCPRIM_400000_NS6detail17trampoline_kernelINS0_14default_configENS1_20scan_config_selectorIjEEZZNS1_9scan_implILNS1_25lookback_scan_determinismE0ELb1ELb1ES3_PjS8_jN6hipcub16HIPCUB_304000_NS3SumEjEEDaPvRmT3_T4_T5_mT6_P12ihipStream_tbENKUlT_T0_E_clISt17integral_constantIbLb1EESP_EEDaSK_SL_EUlSK_E_NS1_11comp_targetILNS1_3genE10ELNS1_11target_archE1200ELNS1_3gpuE4ELNS1_3repE0EEENS1_30default_config_static_selectorELNS0_4arch9wavefront6targetE0EEEvT1_,@function
_ZN7rocprim17ROCPRIM_400000_NS6detail17trampoline_kernelINS0_14default_configENS1_20scan_config_selectorIjEEZZNS1_9scan_implILNS1_25lookback_scan_determinismE0ELb1ELb1ES3_PjS8_jN6hipcub16HIPCUB_304000_NS3SumEjEEDaPvRmT3_T4_T5_mT6_P12ihipStream_tbENKUlT_T0_E_clISt17integral_constantIbLb1EESP_EEDaSK_SL_EUlSK_E_NS1_11comp_targetILNS1_3genE10ELNS1_11target_archE1200ELNS1_3gpuE4ELNS1_3repE0EEENS1_30default_config_static_selectorELNS0_4arch9wavefront6targetE0EEEvT1_: ; @_ZN7rocprim17ROCPRIM_400000_NS6detail17trampoline_kernelINS0_14default_configENS1_20scan_config_selectorIjEEZZNS1_9scan_implILNS1_25lookback_scan_determinismE0ELb1ELb1ES3_PjS8_jN6hipcub16HIPCUB_304000_NS3SumEjEEDaPvRmT3_T4_T5_mT6_P12ihipStream_tbENKUlT_T0_E_clISt17integral_constantIbLb1EESP_EEDaSK_SL_EUlSK_E_NS1_11comp_targetILNS1_3genE10ELNS1_11target_archE1200ELNS1_3gpuE4ELNS1_3repE0EEENS1_30default_config_static_selectorELNS0_4arch9wavefront6targetE0EEEvT1_
; %bb.0:
	.section	.rodata,"a",@progbits
	.p2align	6, 0x0
	.amdhsa_kernel _ZN7rocprim17ROCPRIM_400000_NS6detail17trampoline_kernelINS0_14default_configENS1_20scan_config_selectorIjEEZZNS1_9scan_implILNS1_25lookback_scan_determinismE0ELb1ELb1ES3_PjS8_jN6hipcub16HIPCUB_304000_NS3SumEjEEDaPvRmT3_T4_T5_mT6_P12ihipStream_tbENKUlT_T0_E_clISt17integral_constantIbLb1EESP_EEDaSK_SL_EUlSK_E_NS1_11comp_targetILNS1_3genE10ELNS1_11target_archE1200ELNS1_3gpuE4ELNS1_3repE0EEENS1_30default_config_static_selectorELNS0_4arch9wavefront6targetE0EEEvT1_
		.amdhsa_group_segment_fixed_size 0
		.amdhsa_private_segment_fixed_size 0
		.amdhsa_kernarg_size 96
		.amdhsa_user_sgpr_count 2
		.amdhsa_user_sgpr_dispatch_ptr 0
		.amdhsa_user_sgpr_queue_ptr 0
		.amdhsa_user_sgpr_kernarg_segment_ptr 1
		.amdhsa_user_sgpr_dispatch_id 0
		.amdhsa_user_sgpr_kernarg_preload_length 0
		.amdhsa_user_sgpr_kernarg_preload_offset 0
		.amdhsa_user_sgpr_private_segment_size 0
		.amdhsa_wavefront_size32 1
		.amdhsa_uses_dynamic_stack 0
		.amdhsa_enable_private_segment 0
		.amdhsa_system_sgpr_workgroup_id_x 1
		.amdhsa_system_sgpr_workgroup_id_y 0
		.amdhsa_system_sgpr_workgroup_id_z 0
		.amdhsa_system_sgpr_workgroup_info 0
		.amdhsa_system_vgpr_workitem_id 0
		.amdhsa_next_free_vgpr 1
		.amdhsa_next_free_sgpr 1
		.amdhsa_named_barrier_count 0
		.amdhsa_reserve_vcc 0
		.amdhsa_float_round_mode_32 0
		.amdhsa_float_round_mode_16_64 0
		.amdhsa_float_denorm_mode_32 3
		.amdhsa_float_denorm_mode_16_64 3
		.amdhsa_fp16_overflow 0
		.amdhsa_memory_ordered 1
		.amdhsa_forward_progress 1
		.amdhsa_inst_pref_size 0
		.amdhsa_round_robin_scheduling 0
		.amdhsa_exception_fp_ieee_invalid_op 0
		.amdhsa_exception_fp_denorm_src 0
		.amdhsa_exception_fp_ieee_div_zero 0
		.amdhsa_exception_fp_ieee_overflow 0
		.amdhsa_exception_fp_ieee_underflow 0
		.amdhsa_exception_fp_ieee_inexact 0
		.amdhsa_exception_int_div_zero 0
	.end_amdhsa_kernel
	.section	.text._ZN7rocprim17ROCPRIM_400000_NS6detail17trampoline_kernelINS0_14default_configENS1_20scan_config_selectorIjEEZZNS1_9scan_implILNS1_25lookback_scan_determinismE0ELb1ELb1ES3_PjS8_jN6hipcub16HIPCUB_304000_NS3SumEjEEDaPvRmT3_T4_T5_mT6_P12ihipStream_tbENKUlT_T0_E_clISt17integral_constantIbLb1EESP_EEDaSK_SL_EUlSK_E_NS1_11comp_targetILNS1_3genE10ELNS1_11target_archE1200ELNS1_3gpuE4ELNS1_3repE0EEENS1_30default_config_static_selectorELNS0_4arch9wavefront6targetE0EEEvT1_,"axG",@progbits,_ZN7rocprim17ROCPRIM_400000_NS6detail17trampoline_kernelINS0_14default_configENS1_20scan_config_selectorIjEEZZNS1_9scan_implILNS1_25lookback_scan_determinismE0ELb1ELb1ES3_PjS8_jN6hipcub16HIPCUB_304000_NS3SumEjEEDaPvRmT3_T4_T5_mT6_P12ihipStream_tbENKUlT_T0_E_clISt17integral_constantIbLb1EESP_EEDaSK_SL_EUlSK_E_NS1_11comp_targetILNS1_3genE10ELNS1_11target_archE1200ELNS1_3gpuE4ELNS1_3repE0EEENS1_30default_config_static_selectorELNS0_4arch9wavefront6targetE0EEEvT1_,comdat
.Lfunc_end35:
	.size	_ZN7rocprim17ROCPRIM_400000_NS6detail17trampoline_kernelINS0_14default_configENS1_20scan_config_selectorIjEEZZNS1_9scan_implILNS1_25lookback_scan_determinismE0ELb1ELb1ES3_PjS8_jN6hipcub16HIPCUB_304000_NS3SumEjEEDaPvRmT3_T4_T5_mT6_P12ihipStream_tbENKUlT_T0_E_clISt17integral_constantIbLb1EESP_EEDaSK_SL_EUlSK_E_NS1_11comp_targetILNS1_3genE10ELNS1_11target_archE1200ELNS1_3gpuE4ELNS1_3repE0EEENS1_30default_config_static_selectorELNS0_4arch9wavefront6targetE0EEEvT1_, .Lfunc_end35-_ZN7rocprim17ROCPRIM_400000_NS6detail17trampoline_kernelINS0_14default_configENS1_20scan_config_selectorIjEEZZNS1_9scan_implILNS1_25lookback_scan_determinismE0ELb1ELb1ES3_PjS8_jN6hipcub16HIPCUB_304000_NS3SumEjEEDaPvRmT3_T4_T5_mT6_P12ihipStream_tbENKUlT_T0_E_clISt17integral_constantIbLb1EESP_EEDaSK_SL_EUlSK_E_NS1_11comp_targetILNS1_3genE10ELNS1_11target_archE1200ELNS1_3gpuE4ELNS1_3repE0EEENS1_30default_config_static_selectorELNS0_4arch9wavefront6targetE0EEEvT1_
                                        ; -- End function
	.set _ZN7rocprim17ROCPRIM_400000_NS6detail17trampoline_kernelINS0_14default_configENS1_20scan_config_selectorIjEEZZNS1_9scan_implILNS1_25lookback_scan_determinismE0ELb1ELb1ES3_PjS8_jN6hipcub16HIPCUB_304000_NS3SumEjEEDaPvRmT3_T4_T5_mT6_P12ihipStream_tbENKUlT_T0_E_clISt17integral_constantIbLb1EESP_EEDaSK_SL_EUlSK_E_NS1_11comp_targetILNS1_3genE10ELNS1_11target_archE1200ELNS1_3gpuE4ELNS1_3repE0EEENS1_30default_config_static_selectorELNS0_4arch9wavefront6targetE0EEEvT1_.num_vgpr, 0
	.set _ZN7rocprim17ROCPRIM_400000_NS6detail17trampoline_kernelINS0_14default_configENS1_20scan_config_selectorIjEEZZNS1_9scan_implILNS1_25lookback_scan_determinismE0ELb1ELb1ES3_PjS8_jN6hipcub16HIPCUB_304000_NS3SumEjEEDaPvRmT3_T4_T5_mT6_P12ihipStream_tbENKUlT_T0_E_clISt17integral_constantIbLb1EESP_EEDaSK_SL_EUlSK_E_NS1_11comp_targetILNS1_3genE10ELNS1_11target_archE1200ELNS1_3gpuE4ELNS1_3repE0EEENS1_30default_config_static_selectorELNS0_4arch9wavefront6targetE0EEEvT1_.num_agpr, 0
	.set _ZN7rocprim17ROCPRIM_400000_NS6detail17trampoline_kernelINS0_14default_configENS1_20scan_config_selectorIjEEZZNS1_9scan_implILNS1_25lookback_scan_determinismE0ELb1ELb1ES3_PjS8_jN6hipcub16HIPCUB_304000_NS3SumEjEEDaPvRmT3_T4_T5_mT6_P12ihipStream_tbENKUlT_T0_E_clISt17integral_constantIbLb1EESP_EEDaSK_SL_EUlSK_E_NS1_11comp_targetILNS1_3genE10ELNS1_11target_archE1200ELNS1_3gpuE4ELNS1_3repE0EEENS1_30default_config_static_selectorELNS0_4arch9wavefront6targetE0EEEvT1_.numbered_sgpr, 0
	.set _ZN7rocprim17ROCPRIM_400000_NS6detail17trampoline_kernelINS0_14default_configENS1_20scan_config_selectorIjEEZZNS1_9scan_implILNS1_25lookback_scan_determinismE0ELb1ELb1ES3_PjS8_jN6hipcub16HIPCUB_304000_NS3SumEjEEDaPvRmT3_T4_T5_mT6_P12ihipStream_tbENKUlT_T0_E_clISt17integral_constantIbLb1EESP_EEDaSK_SL_EUlSK_E_NS1_11comp_targetILNS1_3genE10ELNS1_11target_archE1200ELNS1_3gpuE4ELNS1_3repE0EEENS1_30default_config_static_selectorELNS0_4arch9wavefront6targetE0EEEvT1_.num_named_barrier, 0
	.set _ZN7rocprim17ROCPRIM_400000_NS6detail17trampoline_kernelINS0_14default_configENS1_20scan_config_selectorIjEEZZNS1_9scan_implILNS1_25lookback_scan_determinismE0ELb1ELb1ES3_PjS8_jN6hipcub16HIPCUB_304000_NS3SumEjEEDaPvRmT3_T4_T5_mT6_P12ihipStream_tbENKUlT_T0_E_clISt17integral_constantIbLb1EESP_EEDaSK_SL_EUlSK_E_NS1_11comp_targetILNS1_3genE10ELNS1_11target_archE1200ELNS1_3gpuE4ELNS1_3repE0EEENS1_30default_config_static_selectorELNS0_4arch9wavefront6targetE0EEEvT1_.private_seg_size, 0
	.set _ZN7rocprim17ROCPRIM_400000_NS6detail17trampoline_kernelINS0_14default_configENS1_20scan_config_selectorIjEEZZNS1_9scan_implILNS1_25lookback_scan_determinismE0ELb1ELb1ES3_PjS8_jN6hipcub16HIPCUB_304000_NS3SumEjEEDaPvRmT3_T4_T5_mT6_P12ihipStream_tbENKUlT_T0_E_clISt17integral_constantIbLb1EESP_EEDaSK_SL_EUlSK_E_NS1_11comp_targetILNS1_3genE10ELNS1_11target_archE1200ELNS1_3gpuE4ELNS1_3repE0EEENS1_30default_config_static_selectorELNS0_4arch9wavefront6targetE0EEEvT1_.uses_vcc, 0
	.set _ZN7rocprim17ROCPRIM_400000_NS6detail17trampoline_kernelINS0_14default_configENS1_20scan_config_selectorIjEEZZNS1_9scan_implILNS1_25lookback_scan_determinismE0ELb1ELb1ES3_PjS8_jN6hipcub16HIPCUB_304000_NS3SumEjEEDaPvRmT3_T4_T5_mT6_P12ihipStream_tbENKUlT_T0_E_clISt17integral_constantIbLb1EESP_EEDaSK_SL_EUlSK_E_NS1_11comp_targetILNS1_3genE10ELNS1_11target_archE1200ELNS1_3gpuE4ELNS1_3repE0EEENS1_30default_config_static_selectorELNS0_4arch9wavefront6targetE0EEEvT1_.uses_flat_scratch, 0
	.set _ZN7rocprim17ROCPRIM_400000_NS6detail17trampoline_kernelINS0_14default_configENS1_20scan_config_selectorIjEEZZNS1_9scan_implILNS1_25lookback_scan_determinismE0ELb1ELb1ES3_PjS8_jN6hipcub16HIPCUB_304000_NS3SumEjEEDaPvRmT3_T4_T5_mT6_P12ihipStream_tbENKUlT_T0_E_clISt17integral_constantIbLb1EESP_EEDaSK_SL_EUlSK_E_NS1_11comp_targetILNS1_3genE10ELNS1_11target_archE1200ELNS1_3gpuE4ELNS1_3repE0EEENS1_30default_config_static_selectorELNS0_4arch9wavefront6targetE0EEEvT1_.has_dyn_sized_stack, 0
	.set _ZN7rocprim17ROCPRIM_400000_NS6detail17trampoline_kernelINS0_14default_configENS1_20scan_config_selectorIjEEZZNS1_9scan_implILNS1_25lookback_scan_determinismE0ELb1ELb1ES3_PjS8_jN6hipcub16HIPCUB_304000_NS3SumEjEEDaPvRmT3_T4_T5_mT6_P12ihipStream_tbENKUlT_T0_E_clISt17integral_constantIbLb1EESP_EEDaSK_SL_EUlSK_E_NS1_11comp_targetILNS1_3genE10ELNS1_11target_archE1200ELNS1_3gpuE4ELNS1_3repE0EEENS1_30default_config_static_selectorELNS0_4arch9wavefront6targetE0EEEvT1_.has_recursion, 0
	.set _ZN7rocprim17ROCPRIM_400000_NS6detail17trampoline_kernelINS0_14default_configENS1_20scan_config_selectorIjEEZZNS1_9scan_implILNS1_25lookback_scan_determinismE0ELb1ELb1ES3_PjS8_jN6hipcub16HIPCUB_304000_NS3SumEjEEDaPvRmT3_T4_T5_mT6_P12ihipStream_tbENKUlT_T0_E_clISt17integral_constantIbLb1EESP_EEDaSK_SL_EUlSK_E_NS1_11comp_targetILNS1_3genE10ELNS1_11target_archE1200ELNS1_3gpuE4ELNS1_3repE0EEENS1_30default_config_static_selectorELNS0_4arch9wavefront6targetE0EEEvT1_.has_indirect_call, 0
	.section	.AMDGPU.csdata,"",@progbits
; Kernel info:
; codeLenInByte = 0
; TotalNumSgprs: 0
; NumVgprs: 0
; ScratchSize: 0
; MemoryBound: 0
; FloatMode: 240
; IeeeMode: 1
; LDSByteSize: 0 bytes/workgroup (compile time only)
; SGPRBlocks: 0
; VGPRBlocks: 0
; NumSGPRsForWavesPerEU: 1
; NumVGPRsForWavesPerEU: 1
; NamedBarCnt: 0
; Occupancy: 16
; WaveLimiterHint : 0
; COMPUTE_PGM_RSRC2:SCRATCH_EN: 0
; COMPUTE_PGM_RSRC2:USER_SGPR: 2
; COMPUTE_PGM_RSRC2:TRAP_HANDLER: 0
; COMPUTE_PGM_RSRC2:TGID_X_EN: 1
; COMPUTE_PGM_RSRC2:TGID_Y_EN: 0
; COMPUTE_PGM_RSRC2:TGID_Z_EN: 0
; COMPUTE_PGM_RSRC2:TIDIG_COMP_CNT: 0
	.section	.text._ZN7rocprim17ROCPRIM_400000_NS6detail17trampoline_kernelINS0_14default_configENS1_20scan_config_selectorIjEEZZNS1_9scan_implILNS1_25lookback_scan_determinismE0ELb1ELb1ES3_PjS8_jN6hipcub16HIPCUB_304000_NS3SumEjEEDaPvRmT3_T4_T5_mT6_P12ihipStream_tbENKUlT_T0_E_clISt17integral_constantIbLb1EESP_EEDaSK_SL_EUlSK_E_NS1_11comp_targetILNS1_3genE9ELNS1_11target_archE1100ELNS1_3gpuE3ELNS1_3repE0EEENS1_30default_config_static_selectorELNS0_4arch9wavefront6targetE0EEEvT1_,"axG",@progbits,_ZN7rocprim17ROCPRIM_400000_NS6detail17trampoline_kernelINS0_14default_configENS1_20scan_config_selectorIjEEZZNS1_9scan_implILNS1_25lookback_scan_determinismE0ELb1ELb1ES3_PjS8_jN6hipcub16HIPCUB_304000_NS3SumEjEEDaPvRmT3_T4_T5_mT6_P12ihipStream_tbENKUlT_T0_E_clISt17integral_constantIbLb1EESP_EEDaSK_SL_EUlSK_E_NS1_11comp_targetILNS1_3genE9ELNS1_11target_archE1100ELNS1_3gpuE3ELNS1_3repE0EEENS1_30default_config_static_selectorELNS0_4arch9wavefront6targetE0EEEvT1_,comdat
	.protected	_ZN7rocprim17ROCPRIM_400000_NS6detail17trampoline_kernelINS0_14default_configENS1_20scan_config_selectorIjEEZZNS1_9scan_implILNS1_25lookback_scan_determinismE0ELb1ELb1ES3_PjS8_jN6hipcub16HIPCUB_304000_NS3SumEjEEDaPvRmT3_T4_T5_mT6_P12ihipStream_tbENKUlT_T0_E_clISt17integral_constantIbLb1EESP_EEDaSK_SL_EUlSK_E_NS1_11comp_targetILNS1_3genE9ELNS1_11target_archE1100ELNS1_3gpuE3ELNS1_3repE0EEENS1_30default_config_static_selectorELNS0_4arch9wavefront6targetE0EEEvT1_ ; -- Begin function _ZN7rocprim17ROCPRIM_400000_NS6detail17trampoline_kernelINS0_14default_configENS1_20scan_config_selectorIjEEZZNS1_9scan_implILNS1_25lookback_scan_determinismE0ELb1ELb1ES3_PjS8_jN6hipcub16HIPCUB_304000_NS3SumEjEEDaPvRmT3_T4_T5_mT6_P12ihipStream_tbENKUlT_T0_E_clISt17integral_constantIbLb1EESP_EEDaSK_SL_EUlSK_E_NS1_11comp_targetILNS1_3genE9ELNS1_11target_archE1100ELNS1_3gpuE3ELNS1_3repE0EEENS1_30default_config_static_selectorELNS0_4arch9wavefront6targetE0EEEvT1_
	.globl	_ZN7rocprim17ROCPRIM_400000_NS6detail17trampoline_kernelINS0_14default_configENS1_20scan_config_selectorIjEEZZNS1_9scan_implILNS1_25lookback_scan_determinismE0ELb1ELb1ES3_PjS8_jN6hipcub16HIPCUB_304000_NS3SumEjEEDaPvRmT3_T4_T5_mT6_P12ihipStream_tbENKUlT_T0_E_clISt17integral_constantIbLb1EESP_EEDaSK_SL_EUlSK_E_NS1_11comp_targetILNS1_3genE9ELNS1_11target_archE1100ELNS1_3gpuE3ELNS1_3repE0EEENS1_30default_config_static_selectorELNS0_4arch9wavefront6targetE0EEEvT1_
	.p2align	8
	.type	_ZN7rocprim17ROCPRIM_400000_NS6detail17trampoline_kernelINS0_14default_configENS1_20scan_config_selectorIjEEZZNS1_9scan_implILNS1_25lookback_scan_determinismE0ELb1ELb1ES3_PjS8_jN6hipcub16HIPCUB_304000_NS3SumEjEEDaPvRmT3_T4_T5_mT6_P12ihipStream_tbENKUlT_T0_E_clISt17integral_constantIbLb1EESP_EEDaSK_SL_EUlSK_E_NS1_11comp_targetILNS1_3genE9ELNS1_11target_archE1100ELNS1_3gpuE3ELNS1_3repE0EEENS1_30default_config_static_selectorELNS0_4arch9wavefront6targetE0EEEvT1_,@function
_ZN7rocprim17ROCPRIM_400000_NS6detail17trampoline_kernelINS0_14default_configENS1_20scan_config_selectorIjEEZZNS1_9scan_implILNS1_25lookback_scan_determinismE0ELb1ELb1ES3_PjS8_jN6hipcub16HIPCUB_304000_NS3SumEjEEDaPvRmT3_T4_T5_mT6_P12ihipStream_tbENKUlT_T0_E_clISt17integral_constantIbLb1EESP_EEDaSK_SL_EUlSK_E_NS1_11comp_targetILNS1_3genE9ELNS1_11target_archE1100ELNS1_3gpuE3ELNS1_3repE0EEENS1_30default_config_static_selectorELNS0_4arch9wavefront6targetE0EEEvT1_: ; @_ZN7rocprim17ROCPRIM_400000_NS6detail17trampoline_kernelINS0_14default_configENS1_20scan_config_selectorIjEEZZNS1_9scan_implILNS1_25lookback_scan_determinismE0ELb1ELb1ES3_PjS8_jN6hipcub16HIPCUB_304000_NS3SumEjEEDaPvRmT3_T4_T5_mT6_P12ihipStream_tbENKUlT_T0_E_clISt17integral_constantIbLb1EESP_EEDaSK_SL_EUlSK_E_NS1_11comp_targetILNS1_3genE9ELNS1_11target_archE1100ELNS1_3gpuE3ELNS1_3repE0EEENS1_30default_config_static_selectorELNS0_4arch9wavefront6targetE0EEEvT1_
; %bb.0:
	.section	.rodata,"a",@progbits
	.p2align	6, 0x0
	.amdhsa_kernel _ZN7rocprim17ROCPRIM_400000_NS6detail17trampoline_kernelINS0_14default_configENS1_20scan_config_selectorIjEEZZNS1_9scan_implILNS1_25lookback_scan_determinismE0ELb1ELb1ES3_PjS8_jN6hipcub16HIPCUB_304000_NS3SumEjEEDaPvRmT3_T4_T5_mT6_P12ihipStream_tbENKUlT_T0_E_clISt17integral_constantIbLb1EESP_EEDaSK_SL_EUlSK_E_NS1_11comp_targetILNS1_3genE9ELNS1_11target_archE1100ELNS1_3gpuE3ELNS1_3repE0EEENS1_30default_config_static_selectorELNS0_4arch9wavefront6targetE0EEEvT1_
		.amdhsa_group_segment_fixed_size 0
		.amdhsa_private_segment_fixed_size 0
		.amdhsa_kernarg_size 96
		.amdhsa_user_sgpr_count 2
		.amdhsa_user_sgpr_dispatch_ptr 0
		.amdhsa_user_sgpr_queue_ptr 0
		.amdhsa_user_sgpr_kernarg_segment_ptr 1
		.amdhsa_user_sgpr_dispatch_id 0
		.amdhsa_user_sgpr_kernarg_preload_length 0
		.amdhsa_user_sgpr_kernarg_preload_offset 0
		.amdhsa_user_sgpr_private_segment_size 0
		.amdhsa_wavefront_size32 1
		.amdhsa_uses_dynamic_stack 0
		.amdhsa_enable_private_segment 0
		.amdhsa_system_sgpr_workgroup_id_x 1
		.amdhsa_system_sgpr_workgroup_id_y 0
		.amdhsa_system_sgpr_workgroup_id_z 0
		.amdhsa_system_sgpr_workgroup_info 0
		.amdhsa_system_vgpr_workitem_id 0
		.amdhsa_next_free_vgpr 1
		.amdhsa_next_free_sgpr 1
		.amdhsa_named_barrier_count 0
		.amdhsa_reserve_vcc 0
		.amdhsa_float_round_mode_32 0
		.amdhsa_float_round_mode_16_64 0
		.amdhsa_float_denorm_mode_32 3
		.amdhsa_float_denorm_mode_16_64 3
		.amdhsa_fp16_overflow 0
		.amdhsa_memory_ordered 1
		.amdhsa_forward_progress 1
		.amdhsa_inst_pref_size 0
		.amdhsa_round_robin_scheduling 0
		.amdhsa_exception_fp_ieee_invalid_op 0
		.amdhsa_exception_fp_denorm_src 0
		.amdhsa_exception_fp_ieee_div_zero 0
		.amdhsa_exception_fp_ieee_overflow 0
		.amdhsa_exception_fp_ieee_underflow 0
		.amdhsa_exception_fp_ieee_inexact 0
		.amdhsa_exception_int_div_zero 0
	.end_amdhsa_kernel
	.section	.text._ZN7rocprim17ROCPRIM_400000_NS6detail17trampoline_kernelINS0_14default_configENS1_20scan_config_selectorIjEEZZNS1_9scan_implILNS1_25lookback_scan_determinismE0ELb1ELb1ES3_PjS8_jN6hipcub16HIPCUB_304000_NS3SumEjEEDaPvRmT3_T4_T5_mT6_P12ihipStream_tbENKUlT_T0_E_clISt17integral_constantIbLb1EESP_EEDaSK_SL_EUlSK_E_NS1_11comp_targetILNS1_3genE9ELNS1_11target_archE1100ELNS1_3gpuE3ELNS1_3repE0EEENS1_30default_config_static_selectorELNS0_4arch9wavefront6targetE0EEEvT1_,"axG",@progbits,_ZN7rocprim17ROCPRIM_400000_NS6detail17trampoline_kernelINS0_14default_configENS1_20scan_config_selectorIjEEZZNS1_9scan_implILNS1_25lookback_scan_determinismE0ELb1ELb1ES3_PjS8_jN6hipcub16HIPCUB_304000_NS3SumEjEEDaPvRmT3_T4_T5_mT6_P12ihipStream_tbENKUlT_T0_E_clISt17integral_constantIbLb1EESP_EEDaSK_SL_EUlSK_E_NS1_11comp_targetILNS1_3genE9ELNS1_11target_archE1100ELNS1_3gpuE3ELNS1_3repE0EEENS1_30default_config_static_selectorELNS0_4arch9wavefront6targetE0EEEvT1_,comdat
.Lfunc_end36:
	.size	_ZN7rocprim17ROCPRIM_400000_NS6detail17trampoline_kernelINS0_14default_configENS1_20scan_config_selectorIjEEZZNS1_9scan_implILNS1_25lookback_scan_determinismE0ELb1ELb1ES3_PjS8_jN6hipcub16HIPCUB_304000_NS3SumEjEEDaPvRmT3_T4_T5_mT6_P12ihipStream_tbENKUlT_T0_E_clISt17integral_constantIbLb1EESP_EEDaSK_SL_EUlSK_E_NS1_11comp_targetILNS1_3genE9ELNS1_11target_archE1100ELNS1_3gpuE3ELNS1_3repE0EEENS1_30default_config_static_selectorELNS0_4arch9wavefront6targetE0EEEvT1_, .Lfunc_end36-_ZN7rocprim17ROCPRIM_400000_NS6detail17trampoline_kernelINS0_14default_configENS1_20scan_config_selectorIjEEZZNS1_9scan_implILNS1_25lookback_scan_determinismE0ELb1ELb1ES3_PjS8_jN6hipcub16HIPCUB_304000_NS3SumEjEEDaPvRmT3_T4_T5_mT6_P12ihipStream_tbENKUlT_T0_E_clISt17integral_constantIbLb1EESP_EEDaSK_SL_EUlSK_E_NS1_11comp_targetILNS1_3genE9ELNS1_11target_archE1100ELNS1_3gpuE3ELNS1_3repE0EEENS1_30default_config_static_selectorELNS0_4arch9wavefront6targetE0EEEvT1_
                                        ; -- End function
	.set _ZN7rocprim17ROCPRIM_400000_NS6detail17trampoline_kernelINS0_14default_configENS1_20scan_config_selectorIjEEZZNS1_9scan_implILNS1_25lookback_scan_determinismE0ELb1ELb1ES3_PjS8_jN6hipcub16HIPCUB_304000_NS3SumEjEEDaPvRmT3_T4_T5_mT6_P12ihipStream_tbENKUlT_T0_E_clISt17integral_constantIbLb1EESP_EEDaSK_SL_EUlSK_E_NS1_11comp_targetILNS1_3genE9ELNS1_11target_archE1100ELNS1_3gpuE3ELNS1_3repE0EEENS1_30default_config_static_selectorELNS0_4arch9wavefront6targetE0EEEvT1_.num_vgpr, 0
	.set _ZN7rocprim17ROCPRIM_400000_NS6detail17trampoline_kernelINS0_14default_configENS1_20scan_config_selectorIjEEZZNS1_9scan_implILNS1_25lookback_scan_determinismE0ELb1ELb1ES3_PjS8_jN6hipcub16HIPCUB_304000_NS3SumEjEEDaPvRmT3_T4_T5_mT6_P12ihipStream_tbENKUlT_T0_E_clISt17integral_constantIbLb1EESP_EEDaSK_SL_EUlSK_E_NS1_11comp_targetILNS1_3genE9ELNS1_11target_archE1100ELNS1_3gpuE3ELNS1_3repE0EEENS1_30default_config_static_selectorELNS0_4arch9wavefront6targetE0EEEvT1_.num_agpr, 0
	.set _ZN7rocprim17ROCPRIM_400000_NS6detail17trampoline_kernelINS0_14default_configENS1_20scan_config_selectorIjEEZZNS1_9scan_implILNS1_25lookback_scan_determinismE0ELb1ELb1ES3_PjS8_jN6hipcub16HIPCUB_304000_NS3SumEjEEDaPvRmT3_T4_T5_mT6_P12ihipStream_tbENKUlT_T0_E_clISt17integral_constantIbLb1EESP_EEDaSK_SL_EUlSK_E_NS1_11comp_targetILNS1_3genE9ELNS1_11target_archE1100ELNS1_3gpuE3ELNS1_3repE0EEENS1_30default_config_static_selectorELNS0_4arch9wavefront6targetE0EEEvT1_.numbered_sgpr, 0
	.set _ZN7rocprim17ROCPRIM_400000_NS6detail17trampoline_kernelINS0_14default_configENS1_20scan_config_selectorIjEEZZNS1_9scan_implILNS1_25lookback_scan_determinismE0ELb1ELb1ES3_PjS8_jN6hipcub16HIPCUB_304000_NS3SumEjEEDaPvRmT3_T4_T5_mT6_P12ihipStream_tbENKUlT_T0_E_clISt17integral_constantIbLb1EESP_EEDaSK_SL_EUlSK_E_NS1_11comp_targetILNS1_3genE9ELNS1_11target_archE1100ELNS1_3gpuE3ELNS1_3repE0EEENS1_30default_config_static_selectorELNS0_4arch9wavefront6targetE0EEEvT1_.num_named_barrier, 0
	.set _ZN7rocprim17ROCPRIM_400000_NS6detail17trampoline_kernelINS0_14default_configENS1_20scan_config_selectorIjEEZZNS1_9scan_implILNS1_25lookback_scan_determinismE0ELb1ELb1ES3_PjS8_jN6hipcub16HIPCUB_304000_NS3SumEjEEDaPvRmT3_T4_T5_mT6_P12ihipStream_tbENKUlT_T0_E_clISt17integral_constantIbLb1EESP_EEDaSK_SL_EUlSK_E_NS1_11comp_targetILNS1_3genE9ELNS1_11target_archE1100ELNS1_3gpuE3ELNS1_3repE0EEENS1_30default_config_static_selectorELNS0_4arch9wavefront6targetE0EEEvT1_.private_seg_size, 0
	.set _ZN7rocprim17ROCPRIM_400000_NS6detail17trampoline_kernelINS0_14default_configENS1_20scan_config_selectorIjEEZZNS1_9scan_implILNS1_25lookback_scan_determinismE0ELb1ELb1ES3_PjS8_jN6hipcub16HIPCUB_304000_NS3SumEjEEDaPvRmT3_T4_T5_mT6_P12ihipStream_tbENKUlT_T0_E_clISt17integral_constantIbLb1EESP_EEDaSK_SL_EUlSK_E_NS1_11comp_targetILNS1_3genE9ELNS1_11target_archE1100ELNS1_3gpuE3ELNS1_3repE0EEENS1_30default_config_static_selectorELNS0_4arch9wavefront6targetE0EEEvT1_.uses_vcc, 0
	.set _ZN7rocprim17ROCPRIM_400000_NS6detail17trampoline_kernelINS0_14default_configENS1_20scan_config_selectorIjEEZZNS1_9scan_implILNS1_25lookback_scan_determinismE0ELb1ELb1ES3_PjS8_jN6hipcub16HIPCUB_304000_NS3SumEjEEDaPvRmT3_T4_T5_mT6_P12ihipStream_tbENKUlT_T0_E_clISt17integral_constantIbLb1EESP_EEDaSK_SL_EUlSK_E_NS1_11comp_targetILNS1_3genE9ELNS1_11target_archE1100ELNS1_3gpuE3ELNS1_3repE0EEENS1_30default_config_static_selectorELNS0_4arch9wavefront6targetE0EEEvT1_.uses_flat_scratch, 0
	.set _ZN7rocprim17ROCPRIM_400000_NS6detail17trampoline_kernelINS0_14default_configENS1_20scan_config_selectorIjEEZZNS1_9scan_implILNS1_25lookback_scan_determinismE0ELb1ELb1ES3_PjS8_jN6hipcub16HIPCUB_304000_NS3SumEjEEDaPvRmT3_T4_T5_mT6_P12ihipStream_tbENKUlT_T0_E_clISt17integral_constantIbLb1EESP_EEDaSK_SL_EUlSK_E_NS1_11comp_targetILNS1_3genE9ELNS1_11target_archE1100ELNS1_3gpuE3ELNS1_3repE0EEENS1_30default_config_static_selectorELNS0_4arch9wavefront6targetE0EEEvT1_.has_dyn_sized_stack, 0
	.set _ZN7rocprim17ROCPRIM_400000_NS6detail17trampoline_kernelINS0_14default_configENS1_20scan_config_selectorIjEEZZNS1_9scan_implILNS1_25lookback_scan_determinismE0ELb1ELb1ES3_PjS8_jN6hipcub16HIPCUB_304000_NS3SumEjEEDaPvRmT3_T4_T5_mT6_P12ihipStream_tbENKUlT_T0_E_clISt17integral_constantIbLb1EESP_EEDaSK_SL_EUlSK_E_NS1_11comp_targetILNS1_3genE9ELNS1_11target_archE1100ELNS1_3gpuE3ELNS1_3repE0EEENS1_30default_config_static_selectorELNS0_4arch9wavefront6targetE0EEEvT1_.has_recursion, 0
	.set _ZN7rocprim17ROCPRIM_400000_NS6detail17trampoline_kernelINS0_14default_configENS1_20scan_config_selectorIjEEZZNS1_9scan_implILNS1_25lookback_scan_determinismE0ELb1ELb1ES3_PjS8_jN6hipcub16HIPCUB_304000_NS3SumEjEEDaPvRmT3_T4_T5_mT6_P12ihipStream_tbENKUlT_T0_E_clISt17integral_constantIbLb1EESP_EEDaSK_SL_EUlSK_E_NS1_11comp_targetILNS1_3genE9ELNS1_11target_archE1100ELNS1_3gpuE3ELNS1_3repE0EEENS1_30default_config_static_selectorELNS0_4arch9wavefront6targetE0EEEvT1_.has_indirect_call, 0
	.section	.AMDGPU.csdata,"",@progbits
; Kernel info:
; codeLenInByte = 0
; TotalNumSgprs: 0
; NumVgprs: 0
; ScratchSize: 0
; MemoryBound: 0
; FloatMode: 240
; IeeeMode: 1
; LDSByteSize: 0 bytes/workgroup (compile time only)
; SGPRBlocks: 0
; VGPRBlocks: 0
; NumSGPRsForWavesPerEU: 1
; NumVGPRsForWavesPerEU: 1
; NamedBarCnt: 0
; Occupancy: 16
; WaveLimiterHint : 0
; COMPUTE_PGM_RSRC2:SCRATCH_EN: 0
; COMPUTE_PGM_RSRC2:USER_SGPR: 2
; COMPUTE_PGM_RSRC2:TRAP_HANDLER: 0
; COMPUTE_PGM_RSRC2:TGID_X_EN: 1
; COMPUTE_PGM_RSRC2:TGID_Y_EN: 0
; COMPUTE_PGM_RSRC2:TGID_Z_EN: 0
; COMPUTE_PGM_RSRC2:TIDIG_COMP_CNT: 0
	.section	.text._ZN7rocprim17ROCPRIM_400000_NS6detail17trampoline_kernelINS0_14default_configENS1_20scan_config_selectorIjEEZZNS1_9scan_implILNS1_25lookback_scan_determinismE0ELb1ELb1ES3_PjS8_jN6hipcub16HIPCUB_304000_NS3SumEjEEDaPvRmT3_T4_T5_mT6_P12ihipStream_tbENKUlT_T0_E_clISt17integral_constantIbLb1EESP_EEDaSK_SL_EUlSK_E_NS1_11comp_targetILNS1_3genE8ELNS1_11target_archE1030ELNS1_3gpuE2ELNS1_3repE0EEENS1_30default_config_static_selectorELNS0_4arch9wavefront6targetE0EEEvT1_,"axG",@progbits,_ZN7rocprim17ROCPRIM_400000_NS6detail17trampoline_kernelINS0_14default_configENS1_20scan_config_selectorIjEEZZNS1_9scan_implILNS1_25lookback_scan_determinismE0ELb1ELb1ES3_PjS8_jN6hipcub16HIPCUB_304000_NS3SumEjEEDaPvRmT3_T4_T5_mT6_P12ihipStream_tbENKUlT_T0_E_clISt17integral_constantIbLb1EESP_EEDaSK_SL_EUlSK_E_NS1_11comp_targetILNS1_3genE8ELNS1_11target_archE1030ELNS1_3gpuE2ELNS1_3repE0EEENS1_30default_config_static_selectorELNS0_4arch9wavefront6targetE0EEEvT1_,comdat
	.protected	_ZN7rocprim17ROCPRIM_400000_NS6detail17trampoline_kernelINS0_14default_configENS1_20scan_config_selectorIjEEZZNS1_9scan_implILNS1_25lookback_scan_determinismE0ELb1ELb1ES3_PjS8_jN6hipcub16HIPCUB_304000_NS3SumEjEEDaPvRmT3_T4_T5_mT6_P12ihipStream_tbENKUlT_T0_E_clISt17integral_constantIbLb1EESP_EEDaSK_SL_EUlSK_E_NS1_11comp_targetILNS1_3genE8ELNS1_11target_archE1030ELNS1_3gpuE2ELNS1_3repE0EEENS1_30default_config_static_selectorELNS0_4arch9wavefront6targetE0EEEvT1_ ; -- Begin function _ZN7rocprim17ROCPRIM_400000_NS6detail17trampoline_kernelINS0_14default_configENS1_20scan_config_selectorIjEEZZNS1_9scan_implILNS1_25lookback_scan_determinismE0ELb1ELb1ES3_PjS8_jN6hipcub16HIPCUB_304000_NS3SumEjEEDaPvRmT3_T4_T5_mT6_P12ihipStream_tbENKUlT_T0_E_clISt17integral_constantIbLb1EESP_EEDaSK_SL_EUlSK_E_NS1_11comp_targetILNS1_3genE8ELNS1_11target_archE1030ELNS1_3gpuE2ELNS1_3repE0EEENS1_30default_config_static_selectorELNS0_4arch9wavefront6targetE0EEEvT1_
	.globl	_ZN7rocprim17ROCPRIM_400000_NS6detail17trampoline_kernelINS0_14default_configENS1_20scan_config_selectorIjEEZZNS1_9scan_implILNS1_25lookback_scan_determinismE0ELb1ELb1ES3_PjS8_jN6hipcub16HIPCUB_304000_NS3SumEjEEDaPvRmT3_T4_T5_mT6_P12ihipStream_tbENKUlT_T0_E_clISt17integral_constantIbLb1EESP_EEDaSK_SL_EUlSK_E_NS1_11comp_targetILNS1_3genE8ELNS1_11target_archE1030ELNS1_3gpuE2ELNS1_3repE0EEENS1_30default_config_static_selectorELNS0_4arch9wavefront6targetE0EEEvT1_
	.p2align	8
	.type	_ZN7rocprim17ROCPRIM_400000_NS6detail17trampoline_kernelINS0_14default_configENS1_20scan_config_selectorIjEEZZNS1_9scan_implILNS1_25lookback_scan_determinismE0ELb1ELb1ES3_PjS8_jN6hipcub16HIPCUB_304000_NS3SumEjEEDaPvRmT3_T4_T5_mT6_P12ihipStream_tbENKUlT_T0_E_clISt17integral_constantIbLb1EESP_EEDaSK_SL_EUlSK_E_NS1_11comp_targetILNS1_3genE8ELNS1_11target_archE1030ELNS1_3gpuE2ELNS1_3repE0EEENS1_30default_config_static_selectorELNS0_4arch9wavefront6targetE0EEEvT1_,@function
_ZN7rocprim17ROCPRIM_400000_NS6detail17trampoline_kernelINS0_14default_configENS1_20scan_config_selectorIjEEZZNS1_9scan_implILNS1_25lookback_scan_determinismE0ELb1ELb1ES3_PjS8_jN6hipcub16HIPCUB_304000_NS3SumEjEEDaPvRmT3_T4_T5_mT6_P12ihipStream_tbENKUlT_T0_E_clISt17integral_constantIbLb1EESP_EEDaSK_SL_EUlSK_E_NS1_11comp_targetILNS1_3genE8ELNS1_11target_archE1030ELNS1_3gpuE2ELNS1_3repE0EEENS1_30default_config_static_selectorELNS0_4arch9wavefront6targetE0EEEvT1_: ; @_ZN7rocprim17ROCPRIM_400000_NS6detail17trampoline_kernelINS0_14default_configENS1_20scan_config_selectorIjEEZZNS1_9scan_implILNS1_25lookback_scan_determinismE0ELb1ELb1ES3_PjS8_jN6hipcub16HIPCUB_304000_NS3SumEjEEDaPvRmT3_T4_T5_mT6_P12ihipStream_tbENKUlT_T0_E_clISt17integral_constantIbLb1EESP_EEDaSK_SL_EUlSK_E_NS1_11comp_targetILNS1_3genE8ELNS1_11target_archE1030ELNS1_3gpuE2ELNS1_3repE0EEENS1_30default_config_static_selectorELNS0_4arch9wavefront6targetE0EEEvT1_
; %bb.0:
	.section	.rodata,"a",@progbits
	.p2align	6, 0x0
	.amdhsa_kernel _ZN7rocprim17ROCPRIM_400000_NS6detail17trampoline_kernelINS0_14default_configENS1_20scan_config_selectorIjEEZZNS1_9scan_implILNS1_25lookback_scan_determinismE0ELb1ELb1ES3_PjS8_jN6hipcub16HIPCUB_304000_NS3SumEjEEDaPvRmT3_T4_T5_mT6_P12ihipStream_tbENKUlT_T0_E_clISt17integral_constantIbLb1EESP_EEDaSK_SL_EUlSK_E_NS1_11comp_targetILNS1_3genE8ELNS1_11target_archE1030ELNS1_3gpuE2ELNS1_3repE0EEENS1_30default_config_static_selectorELNS0_4arch9wavefront6targetE0EEEvT1_
		.amdhsa_group_segment_fixed_size 0
		.amdhsa_private_segment_fixed_size 0
		.amdhsa_kernarg_size 96
		.amdhsa_user_sgpr_count 2
		.amdhsa_user_sgpr_dispatch_ptr 0
		.amdhsa_user_sgpr_queue_ptr 0
		.amdhsa_user_sgpr_kernarg_segment_ptr 1
		.amdhsa_user_sgpr_dispatch_id 0
		.amdhsa_user_sgpr_kernarg_preload_length 0
		.amdhsa_user_sgpr_kernarg_preload_offset 0
		.amdhsa_user_sgpr_private_segment_size 0
		.amdhsa_wavefront_size32 1
		.amdhsa_uses_dynamic_stack 0
		.amdhsa_enable_private_segment 0
		.amdhsa_system_sgpr_workgroup_id_x 1
		.amdhsa_system_sgpr_workgroup_id_y 0
		.amdhsa_system_sgpr_workgroup_id_z 0
		.amdhsa_system_sgpr_workgroup_info 0
		.amdhsa_system_vgpr_workitem_id 0
		.amdhsa_next_free_vgpr 1
		.amdhsa_next_free_sgpr 1
		.amdhsa_named_barrier_count 0
		.amdhsa_reserve_vcc 0
		.amdhsa_float_round_mode_32 0
		.amdhsa_float_round_mode_16_64 0
		.amdhsa_float_denorm_mode_32 3
		.amdhsa_float_denorm_mode_16_64 3
		.amdhsa_fp16_overflow 0
		.amdhsa_memory_ordered 1
		.amdhsa_forward_progress 1
		.amdhsa_inst_pref_size 0
		.amdhsa_round_robin_scheduling 0
		.amdhsa_exception_fp_ieee_invalid_op 0
		.amdhsa_exception_fp_denorm_src 0
		.amdhsa_exception_fp_ieee_div_zero 0
		.amdhsa_exception_fp_ieee_overflow 0
		.amdhsa_exception_fp_ieee_underflow 0
		.amdhsa_exception_fp_ieee_inexact 0
		.amdhsa_exception_int_div_zero 0
	.end_amdhsa_kernel
	.section	.text._ZN7rocprim17ROCPRIM_400000_NS6detail17trampoline_kernelINS0_14default_configENS1_20scan_config_selectorIjEEZZNS1_9scan_implILNS1_25lookback_scan_determinismE0ELb1ELb1ES3_PjS8_jN6hipcub16HIPCUB_304000_NS3SumEjEEDaPvRmT3_T4_T5_mT6_P12ihipStream_tbENKUlT_T0_E_clISt17integral_constantIbLb1EESP_EEDaSK_SL_EUlSK_E_NS1_11comp_targetILNS1_3genE8ELNS1_11target_archE1030ELNS1_3gpuE2ELNS1_3repE0EEENS1_30default_config_static_selectorELNS0_4arch9wavefront6targetE0EEEvT1_,"axG",@progbits,_ZN7rocprim17ROCPRIM_400000_NS6detail17trampoline_kernelINS0_14default_configENS1_20scan_config_selectorIjEEZZNS1_9scan_implILNS1_25lookback_scan_determinismE0ELb1ELb1ES3_PjS8_jN6hipcub16HIPCUB_304000_NS3SumEjEEDaPvRmT3_T4_T5_mT6_P12ihipStream_tbENKUlT_T0_E_clISt17integral_constantIbLb1EESP_EEDaSK_SL_EUlSK_E_NS1_11comp_targetILNS1_3genE8ELNS1_11target_archE1030ELNS1_3gpuE2ELNS1_3repE0EEENS1_30default_config_static_selectorELNS0_4arch9wavefront6targetE0EEEvT1_,comdat
.Lfunc_end37:
	.size	_ZN7rocprim17ROCPRIM_400000_NS6detail17trampoline_kernelINS0_14default_configENS1_20scan_config_selectorIjEEZZNS1_9scan_implILNS1_25lookback_scan_determinismE0ELb1ELb1ES3_PjS8_jN6hipcub16HIPCUB_304000_NS3SumEjEEDaPvRmT3_T4_T5_mT6_P12ihipStream_tbENKUlT_T0_E_clISt17integral_constantIbLb1EESP_EEDaSK_SL_EUlSK_E_NS1_11comp_targetILNS1_3genE8ELNS1_11target_archE1030ELNS1_3gpuE2ELNS1_3repE0EEENS1_30default_config_static_selectorELNS0_4arch9wavefront6targetE0EEEvT1_, .Lfunc_end37-_ZN7rocprim17ROCPRIM_400000_NS6detail17trampoline_kernelINS0_14default_configENS1_20scan_config_selectorIjEEZZNS1_9scan_implILNS1_25lookback_scan_determinismE0ELb1ELb1ES3_PjS8_jN6hipcub16HIPCUB_304000_NS3SumEjEEDaPvRmT3_T4_T5_mT6_P12ihipStream_tbENKUlT_T0_E_clISt17integral_constantIbLb1EESP_EEDaSK_SL_EUlSK_E_NS1_11comp_targetILNS1_3genE8ELNS1_11target_archE1030ELNS1_3gpuE2ELNS1_3repE0EEENS1_30default_config_static_selectorELNS0_4arch9wavefront6targetE0EEEvT1_
                                        ; -- End function
	.set _ZN7rocprim17ROCPRIM_400000_NS6detail17trampoline_kernelINS0_14default_configENS1_20scan_config_selectorIjEEZZNS1_9scan_implILNS1_25lookback_scan_determinismE0ELb1ELb1ES3_PjS8_jN6hipcub16HIPCUB_304000_NS3SumEjEEDaPvRmT3_T4_T5_mT6_P12ihipStream_tbENKUlT_T0_E_clISt17integral_constantIbLb1EESP_EEDaSK_SL_EUlSK_E_NS1_11comp_targetILNS1_3genE8ELNS1_11target_archE1030ELNS1_3gpuE2ELNS1_3repE0EEENS1_30default_config_static_selectorELNS0_4arch9wavefront6targetE0EEEvT1_.num_vgpr, 0
	.set _ZN7rocprim17ROCPRIM_400000_NS6detail17trampoline_kernelINS0_14default_configENS1_20scan_config_selectorIjEEZZNS1_9scan_implILNS1_25lookback_scan_determinismE0ELb1ELb1ES3_PjS8_jN6hipcub16HIPCUB_304000_NS3SumEjEEDaPvRmT3_T4_T5_mT6_P12ihipStream_tbENKUlT_T0_E_clISt17integral_constantIbLb1EESP_EEDaSK_SL_EUlSK_E_NS1_11comp_targetILNS1_3genE8ELNS1_11target_archE1030ELNS1_3gpuE2ELNS1_3repE0EEENS1_30default_config_static_selectorELNS0_4arch9wavefront6targetE0EEEvT1_.num_agpr, 0
	.set _ZN7rocprim17ROCPRIM_400000_NS6detail17trampoline_kernelINS0_14default_configENS1_20scan_config_selectorIjEEZZNS1_9scan_implILNS1_25lookback_scan_determinismE0ELb1ELb1ES3_PjS8_jN6hipcub16HIPCUB_304000_NS3SumEjEEDaPvRmT3_T4_T5_mT6_P12ihipStream_tbENKUlT_T0_E_clISt17integral_constantIbLb1EESP_EEDaSK_SL_EUlSK_E_NS1_11comp_targetILNS1_3genE8ELNS1_11target_archE1030ELNS1_3gpuE2ELNS1_3repE0EEENS1_30default_config_static_selectorELNS0_4arch9wavefront6targetE0EEEvT1_.numbered_sgpr, 0
	.set _ZN7rocprim17ROCPRIM_400000_NS6detail17trampoline_kernelINS0_14default_configENS1_20scan_config_selectorIjEEZZNS1_9scan_implILNS1_25lookback_scan_determinismE0ELb1ELb1ES3_PjS8_jN6hipcub16HIPCUB_304000_NS3SumEjEEDaPvRmT3_T4_T5_mT6_P12ihipStream_tbENKUlT_T0_E_clISt17integral_constantIbLb1EESP_EEDaSK_SL_EUlSK_E_NS1_11comp_targetILNS1_3genE8ELNS1_11target_archE1030ELNS1_3gpuE2ELNS1_3repE0EEENS1_30default_config_static_selectorELNS0_4arch9wavefront6targetE0EEEvT1_.num_named_barrier, 0
	.set _ZN7rocprim17ROCPRIM_400000_NS6detail17trampoline_kernelINS0_14default_configENS1_20scan_config_selectorIjEEZZNS1_9scan_implILNS1_25lookback_scan_determinismE0ELb1ELb1ES3_PjS8_jN6hipcub16HIPCUB_304000_NS3SumEjEEDaPvRmT3_T4_T5_mT6_P12ihipStream_tbENKUlT_T0_E_clISt17integral_constantIbLb1EESP_EEDaSK_SL_EUlSK_E_NS1_11comp_targetILNS1_3genE8ELNS1_11target_archE1030ELNS1_3gpuE2ELNS1_3repE0EEENS1_30default_config_static_selectorELNS0_4arch9wavefront6targetE0EEEvT1_.private_seg_size, 0
	.set _ZN7rocprim17ROCPRIM_400000_NS6detail17trampoline_kernelINS0_14default_configENS1_20scan_config_selectorIjEEZZNS1_9scan_implILNS1_25lookback_scan_determinismE0ELb1ELb1ES3_PjS8_jN6hipcub16HIPCUB_304000_NS3SumEjEEDaPvRmT3_T4_T5_mT6_P12ihipStream_tbENKUlT_T0_E_clISt17integral_constantIbLb1EESP_EEDaSK_SL_EUlSK_E_NS1_11comp_targetILNS1_3genE8ELNS1_11target_archE1030ELNS1_3gpuE2ELNS1_3repE0EEENS1_30default_config_static_selectorELNS0_4arch9wavefront6targetE0EEEvT1_.uses_vcc, 0
	.set _ZN7rocprim17ROCPRIM_400000_NS6detail17trampoline_kernelINS0_14default_configENS1_20scan_config_selectorIjEEZZNS1_9scan_implILNS1_25lookback_scan_determinismE0ELb1ELb1ES3_PjS8_jN6hipcub16HIPCUB_304000_NS3SumEjEEDaPvRmT3_T4_T5_mT6_P12ihipStream_tbENKUlT_T0_E_clISt17integral_constantIbLb1EESP_EEDaSK_SL_EUlSK_E_NS1_11comp_targetILNS1_3genE8ELNS1_11target_archE1030ELNS1_3gpuE2ELNS1_3repE0EEENS1_30default_config_static_selectorELNS0_4arch9wavefront6targetE0EEEvT1_.uses_flat_scratch, 0
	.set _ZN7rocprim17ROCPRIM_400000_NS6detail17trampoline_kernelINS0_14default_configENS1_20scan_config_selectorIjEEZZNS1_9scan_implILNS1_25lookback_scan_determinismE0ELb1ELb1ES3_PjS8_jN6hipcub16HIPCUB_304000_NS3SumEjEEDaPvRmT3_T4_T5_mT6_P12ihipStream_tbENKUlT_T0_E_clISt17integral_constantIbLb1EESP_EEDaSK_SL_EUlSK_E_NS1_11comp_targetILNS1_3genE8ELNS1_11target_archE1030ELNS1_3gpuE2ELNS1_3repE0EEENS1_30default_config_static_selectorELNS0_4arch9wavefront6targetE0EEEvT1_.has_dyn_sized_stack, 0
	.set _ZN7rocprim17ROCPRIM_400000_NS6detail17trampoline_kernelINS0_14default_configENS1_20scan_config_selectorIjEEZZNS1_9scan_implILNS1_25lookback_scan_determinismE0ELb1ELb1ES3_PjS8_jN6hipcub16HIPCUB_304000_NS3SumEjEEDaPvRmT3_T4_T5_mT6_P12ihipStream_tbENKUlT_T0_E_clISt17integral_constantIbLb1EESP_EEDaSK_SL_EUlSK_E_NS1_11comp_targetILNS1_3genE8ELNS1_11target_archE1030ELNS1_3gpuE2ELNS1_3repE0EEENS1_30default_config_static_selectorELNS0_4arch9wavefront6targetE0EEEvT1_.has_recursion, 0
	.set _ZN7rocprim17ROCPRIM_400000_NS6detail17trampoline_kernelINS0_14default_configENS1_20scan_config_selectorIjEEZZNS1_9scan_implILNS1_25lookback_scan_determinismE0ELb1ELb1ES3_PjS8_jN6hipcub16HIPCUB_304000_NS3SumEjEEDaPvRmT3_T4_T5_mT6_P12ihipStream_tbENKUlT_T0_E_clISt17integral_constantIbLb1EESP_EEDaSK_SL_EUlSK_E_NS1_11comp_targetILNS1_3genE8ELNS1_11target_archE1030ELNS1_3gpuE2ELNS1_3repE0EEENS1_30default_config_static_selectorELNS0_4arch9wavefront6targetE0EEEvT1_.has_indirect_call, 0
	.section	.AMDGPU.csdata,"",@progbits
; Kernel info:
; codeLenInByte = 0
; TotalNumSgprs: 0
; NumVgprs: 0
; ScratchSize: 0
; MemoryBound: 0
; FloatMode: 240
; IeeeMode: 1
; LDSByteSize: 0 bytes/workgroup (compile time only)
; SGPRBlocks: 0
; VGPRBlocks: 0
; NumSGPRsForWavesPerEU: 1
; NumVGPRsForWavesPerEU: 1
; NamedBarCnt: 0
; Occupancy: 16
; WaveLimiterHint : 0
; COMPUTE_PGM_RSRC2:SCRATCH_EN: 0
; COMPUTE_PGM_RSRC2:USER_SGPR: 2
; COMPUTE_PGM_RSRC2:TRAP_HANDLER: 0
; COMPUTE_PGM_RSRC2:TGID_X_EN: 1
; COMPUTE_PGM_RSRC2:TGID_Y_EN: 0
; COMPUTE_PGM_RSRC2:TGID_Z_EN: 0
; COMPUTE_PGM_RSRC2:TIDIG_COMP_CNT: 0
	.section	.text._ZN7rocprim17ROCPRIM_400000_NS6detail17trampoline_kernelINS0_14default_configENS1_20scan_config_selectorIjEEZZNS1_9scan_implILNS1_25lookback_scan_determinismE0ELb1ELb1ES3_PjS8_jN6hipcub16HIPCUB_304000_NS3SumEjEEDaPvRmT3_T4_T5_mT6_P12ihipStream_tbENKUlT_T0_E_clISt17integral_constantIbLb1EESP_EEDaSK_SL_EUlSK_E0_NS1_11comp_targetILNS1_3genE0ELNS1_11target_archE4294967295ELNS1_3gpuE0ELNS1_3repE0EEENS1_30default_config_static_selectorELNS0_4arch9wavefront6targetE0EEEvT1_,"axG",@progbits,_ZN7rocprim17ROCPRIM_400000_NS6detail17trampoline_kernelINS0_14default_configENS1_20scan_config_selectorIjEEZZNS1_9scan_implILNS1_25lookback_scan_determinismE0ELb1ELb1ES3_PjS8_jN6hipcub16HIPCUB_304000_NS3SumEjEEDaPvRmT3_T4_T5_mT6_P12ihipStream_tbENKUlT_T0_E_clISt17integral_constantIbLb1EESP_EEDaSK_SL_EUlSK_E0_NS1_11comp_targetILNS1_3genE0ELNS1_11target_archE4294967295ELNS1_3gpuE0ELNS1_3repE0EEENS1_30default_config_static_selectorELNS0_4arch9wavefront6targetE0EEEvT1_,comdat
	.protected	_ZN7rocprim17ROCPRIM_400000_NS6detail17trampoline_kernelINS0_14default_configENS1_20scan_config_selectorIjEEZZNS1_9scan_implILNS1_25lookback_scan_determinismE0ELb1ELb1ES3_PjS8_jN6hipcub16HIPCUB_304000_NS3SumEjEEDaPvRmT3_T4_T5_mT6_P12ihipStream_tbENKUlT_T0_E_clISt17integral_constantIbLb1EESP_EEDaSK_SL_EUlSK_E0_NS1_11comp_targetILNS1_3genE0ELNS1_11target_archE4294967295ELNS1_3gpuE0ELNS1_3repE0EEENS1_30default_config_static_selectorELNS0_4arch9wavefront6targetE0EEEvT1_ ; -- Begin function _ZN7rocprim17ROCPRIM_400000_NS6detail17trampoline_kernelINS0_14default_configENS1_20scan_config_selectorIjEEZZNS1_9scan_implILNS1_25lookback_scan_determinismE0ELb1ELb1ES3_PjS8_jN6hipcub16HIPCUB_304000_NS3SumEjEEDaPvRmT3_T4_T5_mT6_P12ihipStream_tbENKUlT_T0_E_clISt17integral_constantIbLb1EESP_EEDaSK_SL_EUlSK_E0_NS1_11comp_targetILNS1_3genE0ELNS1_11target_archE4294967295ELNS1_3gpuE0ELNS1_3repE0EEENS1_30default_config_static_selectorELNS0_4arch9wavefront6targetE0EEEvT1_
	.globl	_ZN7rocprim17ROCPRIM_400000_NS6detail17trampoline_kernelINS0_14default_configENS1_20scan_config_selectorIjEEZZNS1_9scan_implILNS1_25lookback_scan_determinismE0ELb1ELb1ES3_PjS8_jN6hipcub16HIPCUB_304000_NS3SumEjEEDaPvRmT3_T4_T5_mT6_P12ihipStream_tbENKUlT_T0_E_clISt17integral_constantIbLb1EESP_EEDaSK_SL_EUlSK_E0_NS1_11comp_targetILNS1_3genE0ELNS1_11target_archE4294967295ELNS1_3gpuE0ELNS1_3repE0EEENS1_30default_config_static_selectorELNS0_4arch9wavefront6targetE0EEEvT1_
	.p2align	8
	.type	_ZN7rocprim17ROCPRIM_400000_NS6detail17trampoline_kernelINS0_14default_configENS1_20scan_config_selectorIjEEZZNS1_9scan_implILNS1_25lookback_scan_determinismE0ELb1ELb1ES3_PjS8_jN6hipcub16HIPCUB_304000_NS3SumEjEEDaPvRmT3_T4_T5_mT6_P12ihipStream_tbENKUlT_T0_E_clISt17integral_constantIbLb1EESP_EEDaSK_SL_EUlSK_E0_NS1_11comp_targetILNS1_3genE0ELNS1_11target_archE4294967295ELNS1_3gpuE0ELNS1_3repE0EEENS1_30default_config_static_selectorELNS0_4arch9wavefront6targetE0EEEvT1_,@function
_ZN7rocprim17ROCPRIM_400000_NS6detail17trampoline_kernelINS0_14default_configENS1_20scan_config_selectorIjEEZZNS1_9scan_implILNS1_25lookback_scan_determinismE0ELb1ELb1ES3_PjS8_jN6hipcub16HIPCUB_304000_NS3SumEjEEDaPvRmT3_T4_T5_mT6_P12ihipStream_tbENKUlT_T0_E_clISt17integral_constantIbLb1EESP_EEDaSK_SL_EUlSK_E0_NS1_11comp_targetILNS1_3genE0ELNS1_11target_archE4294967295ELNS1_3gpuE0ELNS1_3repE0EEENS1_30default_config_static_selectorELNS0_4arch9wavefront6targetE0EEEvT1_: ; @_ZN7rocprim17ROCPRIM_400000_NS6detail17trampoline_kernelINS0_14default_configENS1_20scan_config_selectorIjEEZZNS1_9scan_implILNS1_25lookback_scan_determinismE0ELb1ELb1ES3_PjS8_jN6hipcub16HIPCUB_304000_NS3SumEjEEDaPvRmT3_T4_T5_mT6_P12ihipStream_tbENKUlT_T0_E_clISt17integral_constantIbLb1EESP_EEDaSK_SL_EUlSK_E0_NS1_11comp_targetILNS1_3genE0ELNS1_11target_archE4294967295ELNS1_3gpuE0ELNS1_3repE0EEENS1_30default_config_static_selectorELNS0_4arch9wavefront6targetE0EEEvT1_
; %bb.0:
	s_load_b128 s[16:19], s[0:1], 0x0
	s_wait_kmcnt 0x0
	v_cmp_gt_u32_e32 vcc_lo, s18, v0
	s_load_b32 s19, s[16:17], 0x0
	s_wait_kmcnt 0x0
	v_mov_b32_e32 v1, s19
	s_and_saveexec_b32 s2, vcc_lo
	s_cbranch_execz .LBB38_2
; %bb.1:
	global_load_b32 v1, v0, s[16:17] scale_offset
.LBB38_2:
	s_wait_xcnt 0x0
	s_or_b32 exec_lo, exec_lo, s2
	v_or_b32_e32 v2, 0x100, v0
	s_delay_alu instid0(VALU_DEP_1)
	v_cmp_gt_u32_e64 s2, s18, v2
	v_mov_b32_e32 v2, s19
	s_and_saveexec_b32 s3, s2
	s_cbranch_execz .LBB38_4
; %bb.3:
	global_load_b32 v2, v0, s[16:17] offset:1024 scale_offset
.LBB38_4:
	s_wait_xcnt 0x0
	s_or_b32 exec_lo, exec_lo, s3
	v_or_b32_e32 v3, 0x200, v0
	s_delay_alu instid0(VALU_DEP_1)
	v_cmp_gt_u32_e64 s3, s18, v3
	v_mov_b32_e32 v3, s19
	s_and_saveexec_b32 s4, s3
	s_cbranch_execz .LBB38_6
; %bb.5:
	global_load_b32 v3, v0, s[16:17] offset:2048 scale_offset
.LBB38_6:
	;; [unrolled: 11-line block ×12, first 2 shown]
	s_wait_xcnt 0x0
	s_or_b32 exec_lo, exec_lo, s14
	v_or_b32_e32 v14, 0xd00, v0
	s_delay_alu instid0(VALU_DEP_1) | instskip(SKIP_2) | instid1(SALU_CYCLE_1)
	v_cmp_gt_u32_e64 s14, s18, v14
	v_cmp_le_u32_e64 s15, s18, v14
	s_and_saveexec_b32 s18, s15
	s_xor_b32 s15, exec_lo, s18
	s_delay_alu instid0(SALU_CYCLE_1)
	s_or_saveexec_b32 s15, s15
	v_mov_b32_e32 v14, s19
	s_xor_b32 exec_lo, exec_lo, s15
	s_cbranch_execz .LBB38_28
; %bb.27:
	global_load_b32 v14, v0, s[16:17] offset:13312 scale_offset
.LBB38_28:
	s_wait_xcnt 0x0
	s_or_b32 exec_lo, exec_lo, s15
	v_lshlrev_b32_e32 v16, 2, v0
	s_load_b32 s18, s[0:1], 0x10
	v_or_b32_e32 v19, 31, v0
	s_mov_b32 s16, exec_lo
	s_wait_loadcnt 0x0
	ds_store_2addr_stride64_b32 v16, v1, v2 offset1:4
	ds_store_2addr_stride64_b32 v16, v3, v4 offset0:8 offset1:12
	ds_store_2addr_stride64_b32 v16, v5, v6 offset0:16 offset1:20
	;; [unrolled: 1-line block ×6, first 2 shown]
	v_mad_u32_u24 v1, v0, 52, v16
	s_wait_dscnt 0x0
	s_barrier_signal -1
	s_barrier_wait -1
	ds_load_2addr_b64 v[10:13], v1 offset1:1
	ds_load_2addr_b64 v[6:9], v1 offset0:2 offset1:3
	ds_load_2addr_b64 v[2:5], v1 offset0:4 offset1:5
	s_wait_dscnt 0x2
	v_add_nc_u32_e32 v14, v11, v10
	s_delay_alu instid0(VALU_DEP_1)
	v_add3_u32 v17, v14, v12, v13
	ds_load_b64 v[14:15], v1 offset:48
	s_wait_dscnt 0x0
	s_barrier_signal -1
	s_barrier_wait -1
	v_add3_u32 v1, v17, v6, v7
	s_delay_alu instid0(VALU_DEP_1) | instskip(NEXT) | instid1(VALU_DEP_1)
	v_add3_u32 v1, v1, v8, v9
	v_add3_u32 v1, v1, v2, v3
	s_delay_alu instid0(VALU_DEP_1) | instskip(SKIP_1) | instid1(VALU_DEP_2)
	v_add3_u32 v17, v1, v4, v5
	v_mbcnt_lo_u32_b32 v1, -1, 0
	v_add3_u32 v15, v17, v14, v15
	s_delay_alu instid0(VALU_DEP_1) | instskip(NEXT) | instid1(VALU_DEP_3)
	v_mov_b32_dpp v18, v15 row_shr:1 row_mask:0xf bank_mask:0xf
	v_and_b32_e32 v17, 15, v1
	s_delay_alu instid0(VALU_DEP_1) | instskip(NEXT) | instid1(VALU_DEP_1)
	v_cmp_ne_u32_e64 s15, 0, v17
	v_cndmask_b32_e64 v18, 0, v18, s15
	v_cmp_lt_u32_e64 s15, 1, v17
	s_delay_alu instid0(VALU_DEP_2) | instskip(NEXT) | instid1(VALU_DEP_1)
	v_add_nc_u32_e32 v15, v18, v15
	v_mov_b32_dpp v18, v15 row_shr:2 row_mask:0xf bank_mask:0xf
	s_delay_alu instid0(VALU_DEP_1) | instskip(SKIP_1) | instid1(VALU_DEP_2)
	v_cndmask_b32_e64 v18, 0, v18, s15
	v_cmp_lt_u32_e64 s15, 3, v17
	v_add_nc_u32_e32 v15, v15, v18
	s_delay_alu instid0(VALU_DEP_1) | instskip(NEXT) | instid1(VALU_DEP_1)
	v_mov_b32_dpp v18, v15 row_shr:4 row_mask:0xf bank_mask:0xf
	v_cndmask_b32_e64 v18, 0, v18, s15
	v_cmp_lt_u32_e64 s15, 7, v17
	s_delay_alu instid0(VALU_DEP_2) | instskip(NEXT) | instid1(VALU_DEP_1)
	v_add_nc_u32_e32 v15, v15, v18
	v_mov_b32_dpp v18, v15 row_shr:8 row_mask:0xf bank_mask:0xf
	s_delay_alu instid0(VALU_DEP_1) | instskip(SKIP_1) | instid1(VALU_DEP_2)
	v_cndmask_b32_e64 v17, 0, v18, s15
	v_bfe_i32 v18, v1, 4, 1
	v_add_nc_u32_e32 v15, v15, v17
	ds_swizzle_b32 v17, v15 offset:swizzle(BROADCAST,32,15)
	s_wait_dscnt 0x0
	v_dual_lshrrev_b32 v17, 5, v0 :: v_dual_bitop2_b32 v18, v18, v17 bitop3:0x40
	s_delay_alu instid0(VALU_DEP_1)
	v_add_nc_u32_e32 v15, v15, v18
	v_cmpx_eq_u32_e64 v0, v19
; %bb.29:
	s_delay_alu instid0(VALU_DEP_3)
	v_lshlrev_b32_e32 v18, 2, v17
	ds_store_b32 v18, v15
; %bb.30:
	s_or_b32 exec_lo, exec_lo, s16
	s_delay_alu instid0(SALU_CYCLE_1)
	s_mov_b32 s16, exec_lo
	s_wait_dscnt 0x0
	s_barrier_signal -1
	s_barrier_wait -1
	v_cmpx_gt_u32_e32 8, v0
	s_cbranch_execz .LBB38_32
; %bb.31:
	ds_load_b32 v18, v16
	s_wait_dscnt 0x0
	v_mov_b32_dpp v20, v18 row_shr:1 row_mask:0xf bank_mask:0xf
	v_and_b32_e32 v19, 7, v1
	s_delay_alu instid0(VALU_DEP_1) | instskip(NEXT) | instid1(VALU_DEP_1)
	v_cmp_ne_u32_e64 s15, 0, v19
	v_cndmask_b32_e64 v20, 0, v20, s15
	v_cmp_lt_u32_e64 s15, 1, v19
	s_delay_alu instid0(VALU_DEP_2) | instskip(NEXT) | instid1(VALU_DEP_1)
	v_add_nc_u32_e32 v18, v20, v18
	v_mov_b32_dpp v20, v18 row_shr:2 row_mask:0xf bank_mask:0xf
	s_delay_alu instid0(VALU_DEP_1) | instskip(SKIP_1) | instid1(VALU_DEP_2)
	v_cndmask_b32_e64 v20, 0, v20, s15
	v_cmp_lt_u32_e64 s15, 3, v19
	v_add_nc_u32_e32 v18, v18, v20
	s_delay_alu instid0(VALU_DEP_1) | instskip(NEXT) | instid1(VALU_DEP_1)
	v_mov_b32_dpp v20, v18 row_shr:4 row_mask:0xf bank_mask:0xf
	v_cndmask_b32_e64 v19, 0, v20, s15
	s_delay_alu instid0(VALU_DEP_1)
	v_add_nc_u32_e32 v18, v18, v19
	ds_store_b32 v16, v18
.LBB38_32:
	s_or_b32 exec_lo, exec_lo, s16
	s_load_b64 s[16:17], s[0:1], 0x18
	v_mul_u32_u24_e32 v18, 52, v0
	s_wait_kmcnt 0x0
	v_mov_b32_e32 v19, s18
	s_mov_b32 s1, exec_lo
	s_wait_dscnt 0x0
	s_barrier_signal -1
	s_barrier_wait -1
	v_cmpx_lt_u32_e32 31, v0
	s_cbranch_execz .LBB38_34
; %bb.33:
	v_lshl_add_u32 v17, v17, 2, -4
	ds_load_b32 v17, v17
	s_wait_dscnt 0x0
	v_add_nc_u32_e32 v19, s18, v17
.LBB38_34:
	s_or_b32 exec_lo, exec_lo, s1
	v_sub_co_u32 v17, s0, v1, 1
	s_barrier_signal -1
	s_barrier_wait -1
	s_delay_alu instid0(VALU_DEP_1) | instskip(NEXT) | instid1(VALU_DEP_1)
	v_cmp_gt_i32_e64 s1, 0, v17
	v_dual_add_nc_u32 v15, v19, v15 :: v_dual_cndmask_b32 v1, v17, v1, s1
	s_delay_alu instid0(VALU_DEP_1)
	v_lshlrev_b32_e32 v1, 2, v1
	ds_bpermute_b32 v1, v1, v15
	s_wait_dscnt 0x0
	v_cndmask_b32_e64 v1, v1, v19, s0
	v_cmp_eq_u32_e64 s0, 0, v0
	v_lshlrev_b32_e32 v0, 2, v0
	s_delay_alu instid0(VALU_DEP_2) | instskip(SKIP_1) | instid1(VALU_DEP_2)
	v_cndmask_b32_e64 v20, v1, s18, s0
	v_add_nc_u32_e32 v1, v16, v18
	v_add_nc_u32_e32 v21, v20, v10
	s_delay_alu instid0(VALU_DEP_1) | instskip(NEXT) | instid1(VALU_DEP_1)
	v_add_nc_u32_e32 v10, v21, v11
	v_add_nc_u32_e32 v11, v10, v12
	s_delay_alu instid0(VALU_DEP_1) | instskip(NEXT) | instid1(VALU_DEP_1)
	;; [unrolled: 3-line block ×6, first 2 shown]
	v_add_nc_u32_e32 v4, v3, v5
	v_add_nc_u32_e32 v5, v4, v14
	ds_store_2addr_b64 v1, v[20:21], v[10:11] offset1:1
	ds_store_2addr_b64 v1, v[12:13], v[6:7] offset0:2 offset1:3
	ds_store_2addr_b64 v1, v[8:9], v[2:3] offset0:4 offset1:5
	ds_store_b64 v1, v[4:5] offset:48
	s_wait_dscnt 0x0
	s_barrier_signal -1
	s_barrier_wait -1
	ds_load_2addr_stride64_b32 v[12:13], v16 offset0:4 offset1:8
	ds_load_2addr_stride64_b32 v[10:11], v16 offset0:12 offset1:16
	;; [unrolled: 1-line block ×6, first 2 shown]
	ds_load_b32 v14, v16 offset:13312
	v_mov_b32_e32 v1, 0
	s_delay_alu instid0(VALU_DEP_1)
	v_add_nc_u64_e32 v[0:1], s[16:17], v[0:1]
	s_and_saveexec_b32 s0, vcc_lo
	s_cbranch_execnz .LBB38_49
; %bb.35:
	s_or_b32 exec_lo, exec_lo, s0
	s_and_saveexec_b32 s0, s2
	s_cbranch_execnz .LBB38_50
.LBB38_36:
	s_or_b32 exec_lo, exec_lo, s0
	s_and_saveexec_b32 s0, s3
	s_cbranch_execnz .LBB38_51
.LBB38_37:
	s_or_b32 exec_lo, exec_lo, s0
	s_and_saveexec_b32 s0, s4
	s_cbranch_execnz .LBB38_52
.LBB38_38:
	s_or_b32 exec_lo, exec_lo, s0
	s_and_saveexec_b32 s0, s5
	s_cbranch_execnz .LBB38_53
.LBB38_39:
	s_or_b32 exec_lo, exec_lo, s0
	s_and_saveexec_b32 s0, s6
	s_cbranch_execnz .LBB38_54
.LBB38_40:
	s_or_b32 exec_lo, exec_lo, s0
	s_and_saveexec_b32 s0, s7
	s_cbranch_execnz .LBB38_55
.LBB38_41:
	s_or_b32 exec_lo, exec_lo, s0
	s_and_saveexec_b32 s0, s8
	s_cbranch_execnz .LBB38_56
.LBB38_42:
	s_or_b32 exec_lo, exec_lo, s0
	s_and_saveexec_b32 s0, s9
	s_cbranch_execnz .LBB38_57
.LBB38_43:
	s_or_b32 exec_lo, exec_lo, s0
	s_and_saveexec_b32 s0, s10
	s_cbranch_execnz .LBB38_58
.LBB38_44:
	s_or_b32 exec_lo, exec_lo, s0
	s_and_saveexec_b32 s0, s11
	s_cbranch_execnz .LBB38_59
.LBB38_45:
	s_or_b32 exec_lo, exec_lo, s0
	s_and_saveexec_b32 s0, s12
	s_cbranch_execnz .LBB38_60
.LBB38_46:
	s_or_b32 exec_lo, exec_lo, s0
	s_and_saveexec_b32 s0, s13
	s_cbranch_execnz .LBB38_61
.LBB38_47:
	s_or_b32 exec_lo, exec_lo, s0
	s_and_saveexec_b32 s0, s14
	s_cbranch_execnz .LBB38_62
.LBB38_48:
	s_endpgm
.LBB38_49:
	ds_load_b32 v15, v16
	s_wait_dscnt 0x0
	global_store_b32 v[0:1], v15, off
	s_wait_xcnt 0x0
	s_or_b32 exec_lo, exec_lo, s0
	s_and_saveexec_b32 s0, s2
	s_cbranch_execz .LBB38_36
.LBB38_50:
	s_wait_dscnt 0x6
	global_store_b32 v[0:1], v12, off offset:1024
	s_wait_xcnt 0x0
	s_or_b32 exec_lo, exec_lo, s0
	s_and_saveexec_b32 s0, s3
	s_cbranch_execz .LBB38_37
.LBB38_51:
	s_wait_dscnt 0x6
	global_store_b32 v[0:1], v13, off offset:2048
	s_wait_xcnt 0x0
	s_or_b32 exec_lo, exec_lo, s0
	s_and_saveexec_b32 s0, s4
	s_cbranch_execz .LBB38_38
.LBB38_52:
	s_wait_dscnt 0x5
	global_store_b32 v[0:1], v10, off offset:3072
	s_wait_xcnt 0x0
	s_or_b32 exec_lo, exec_lo, s0
	s_and_saveexec_b32 s0, s5
	s_cbranch_execz .LBB38_39
.LBB38_53:
	s_wait_dscnt 0x5
	global_store_b32 v[0:1], v11, off offset:4096
	s_wait_xcnt 0x0
	s_or_b32 exec_lo, exec_lo, s0
	s_and_saveexec_b32 s0, s6
	s_cbranch_execz .LBB38_40
.LBB38_54:
	s_wait_dscnt 0x4
	global_store_b32 v[0:1], v8, off offset:5120
	s_wait_xcnt 0x0
	s_or_b32 exec_lo, exec_lo, s0
	s_and_saveexec_b32 s0, s7
	s_cbranch_execz .LBB38_41
.LBB38_55:
	s_wait_dscnt 0x4
	global_store_b32 v[0:1], v9, off offset:6144
	s_wait_xcnt 0x0
	s_or_b32 exec_lo, exec_lo, s0
	s_and_saveexec_b32 s0, s8
	s_cbranch_execz .LBB38_42
.LBB38_56:
	s_wait_dscnt 0x3
	global_store_b32 v[0:1], v6, off offset:7168
	s_wait_xcnt 0x0
	s_or_b32 exec_lo, exec_lo, s0
	s_and_saveexec_b32 s0, s9
	s_cbranch_execz .LBB38_43
.LBB38_57:
	s_wait_dscnt 0x3
	global_store_b32 v[0:1], v7, off offset:8192
	s_wait_xcnt 0x0
	s_or_b32 exec_lo, exec_lo, s0
	s_and_saveexec_b32 s0, s10
	s_cbranch_execz .LBB38_44
.LBB38_58:
	s_wait_dscnt 0x2
	global_store_b32 v[0:1], v4, off offset:9216
	s_wait_xcnt 0x0
	s_or_b32 exec_lo, exec_lo, s0
	s_and_saveexec_b32 s0, s11
	s_cbranch_execz .LBB38_45
.LBB38_59:
	s_wait_dscnt 0x2
	global_store_b32 v[0:1], v5, off offset:10240
	s_wait_xcnt 0x0
	s_or_b32 exec_lo, exec_lo, s0
	s_and_saveexec_b32 s0, s12
	s_cbranch_execz .LBB38_46
.LBB38_60:
	s_wait_dscnt 0x1
	global_store_b32 v[0:1], v2, off offset:11264
	s_wait_xcnt 0x0
	s_or_b32 exec_lo, exec_lo, s0
	s_and_saveexec_b32 s0, s13
	s_cbranch_execz .LBB38_47
.LBB38_61:
	s_wait_dscnt 0x1
	global_store_b32 v[0:1], v3, off offset:12288
	s_wait_xcnt 0x0
	s_or_b32 exec_lo, exec_lo, s0
	s_and_saveexec_b32 s0, s14
	s_cbranch_execz .LBB38_48
.LBB38_62:
	s_wait_dscnt 0x0
	global_store_b32 v[0:1], v14, off offset:13312
	s_endpgm
	.section	.rodata,"a",@progbits
	.p2align	6, 0x0
	.amdhsa_kernel _ZN7rocprim17ROCPRIM_400000_NS6detail17trampoline_kernelINS0_14default_configENS1_20scan_config_selectorIjEEZZNS1_9scan_implILNS1_25lookback_scan_determinismE0ELb1ELb1ES3_PjS8_jN6hipcub16HIPCUB_304000_NS3SumEjEEDaPvRmT3_T4_T5_mT6_P12ihipStream_tbENKUlT_T0_E_clISt17integral_constantIbLb1EESP_EEDaSK_SL_EUlSK_E0_NS1_11comp_targetILNS1_3genE0ELNS1_11target_archE4294967295ELNS1_3gpuE0ELNS1_3repE0EEENS1_30default_config_static_selectorELNS0_4arch9wavefront6targetE0EEEvT1_
		.amdhsa_group_segment_fixed_size 14336
		.amdhsa_private_segment_fixed_size 0
		.amdhsa_kernarg_size 32
		.amdhsa_user_sgpr_count 2
		.amdhsa_user_sgpr_dispatch_ptr 0
		.amdhsa_user_sgpr_queue_ptr 0
		.amdhsa_user_sgpr_kernarg_segment_ptr 1
		.amdhsa_user_sgpr_dispatch_id 0
		.amdhsa_user_sgpr_kernarg_preload_length 0
		.amdhsa_user_sgpr_kernarg_preload_offset 0
		.amdhsa_user_sgpr_private_segment_size 0
		.amdhsa_wavefront_size32 1
		.amdhsa_uses_dynamic_stack 0
		.amdhsa_enable_private_segment 0
		.amdhsa_system_sgpr_workgroup_id_x 1
		.amdhsa_system_sgpr_workgroup_id_y 0
		.amdhsa_system_sgpr_workgroup_id_z 0
		.amdhsa_system_sgpr_workgroup_info 0
		.amdhsa_system_vgpr_workitem_id 0
		.amdhsa_next_free_vgpr 22
		.amdhsa_next_free_sgpr 20
		.amdhsa_named_barrier_count 0
		.amdhsa_reserve_vcc 1
		.amdhsa_float_round_mode_32 0
		.amdhsa_float_round_mode_16_64 0
		.amdhsa_float_denorm_mode_32 3
		.amdhsa_float_denorm_mode_16_64 3
		.amdhsa_fp16_overflow 0
		.amdhsa_memory_ordered 1
		.amdhsa_forward_progress 1
		.amdhsa_inst_pref_size 19
		.amdhsa_round_robin_scheduling 0
		.amdhsa_exception_fp_ieee_invalid_op 0
		.amdhsa_exception_fp_denorm_src 0
		.amdhsa_exception_fp_ieee_div_zero 0
		.amdhsa_exception_fp_ieee_overflow 0
		.amdhsa_exception_fp_ieee_underflow 0
		.amdhsa_exception_fp_ieee_inexact 0
		.amdhsa_exception_int_div_zero 0
	.end_amdhsa_kernel
	.section	.text._ZN7rocprim17ROCPRIM_400000_NS6detail17trampoline_kernelINS0_14default_configENS1_20scan_config_selectorIjEEZZNS1_9scan_implILNS1_25lookback_scan_determinismE0ELb1ELb1ES3_PjS8_jN6hipcub16HIPCUB_304000_NS3SumEjEEDaPvRmT3_T4_T5_mT6_P12ihipStream_tbENKUlT_T0_E_clISt17integral_constantIbLb1EESP_EEDaSK_SL_EUlSK_E0_NS1_11comp_targetILNS1_3genE0ELNS1_11target_archE4294967295ELNS1_3gpuE0ELNS1_3repE0EEENS1_30default_config_static_selectorELNS0_4arch9wavefront6targetE0EEEvT1_,"axG",@progbits,_ZN7rocprim17ROCPRIM_400000_NS6detail17trampoline_kernelINS0_14default_configENS1_20scan_config_selectorIjEEZZNS1_9scan_implILNS1_25lookback_scan_determinismE0ELb1ELb1ES3_PjS8_jN6hipcub16HIPCUB_304000_NS3SumEjEEDaPvRmT3_T4_T5_mT6_P12ihipStream_tbENKUlT_T0_E_clISt17integral_constantIbLb1EESP_EEDaSK_SL_EUlSK_E0_NS1_11comp_targetILNS1_3genE0ELNS1_11target_archE4294967295ELNS1_3gpuE0ELNS1_3repE0EEENS1_30default_config_static_selectorELNS0_4arch9wavefront6targetE0EEEvT1_,comdat
.Lfunc_end38:
	.size	_ZN7rocprim17ROCPRIM_400000_NS6detail17trampoline_kernelINS0_14default_configENS1_20scan_config_selectorIjEEZZNS1_9scan_implILNS1_25lookback_scan_determinismE0ELb1ELb1ES3_PjS8_jN6hipcub16HIPCUB_304000_NS3SumEjEEDaPvRmT3_T4_T5_mT6_P12ihipStream_tbENKUlT_T0_E_clISt17integral_constantIbLb1EESP_EEDaSK_SL_EUlSK_E0_NS1_11comp_targetILNS1_3genE0ELNS1_11target_archE4294967295ELNS1_3gpuE0ELNS1_3repE0EEENS1_30default_config_static_selectorELNS0_4arch9wavefront6targetE0EEEvT1_, .Lfunc_end38-_ZN7rocprim17ROCPRIM_400000_NS6detail17trampoline_kernelINS0_14default_configENS1_20scan_config_selectorIjEEZZNS1_9scan_implILNS1_25lookback_scan_determinismE0ELb1ELb1ES3_PjS8_jN6hipcub16HIPCUB_304000_NS3SumEjEEDaPvRmT3_T4_T5_mT6_P12ihipStream_tbENKUlT_T0_E_clISt17integral_constantIbLb1EESP_EEDaSK_SL_EUlSK_E0_NS1_11comp_targetILNS1_3genE0ELNS1_11target_archE4294967295ELNS1_3gpuE0ELNS1_3repE0EEENS1_30default_config_static_selectorELNS0_4arch9wavefront6targetE0EEEvT1_
                                        ; -- End function
	.set _ZN7rocprim17ROCPRIM_400000_NS6detail17trampoline_kernelINS0_14default_configENS1_20scan_config_selectorIjEEZZNS1_9scan_implILNS1_25lookback_scan_determinismE0ELb1ELb1ES3_PjS8_jN6hipcub16HIPCUB_304000_NS3SumEjEEDaPvRmT3_T4_T5_mT6_P12ihipStream_tbENKUlT_T0_E_clISt17integral_constantIbLb1EESP_EEDaSK_SL_EUlSK_E0_NS1_11comp_targetILNS1_3genE0ELNS1_11target_archE4294967295ELNS1_3gpuE0ELNS1_3repE0EEENS1_30default_config_static_selectorELNS0_4arch9wavefront6targetE0EEEvT1_.num_vgpr, 22
	.set _ZN7rocprim17ROCPRIM_400000_NS6detail17trampoline_kernelINS0_14default_configENS1_20scan_config_selectorIjEEZZNS1_9scan_implILNS1_25lookback_scan_determinismE0ELb1ELb1ES3_PjS8_jN6hipcub16HIPCUB_304000_NS3SumEjEEDaPvRmT3_T4_T5_mT6_P12ihipStream_tbENKUlT_T0_E_clISt17integral_constantIbLb1EESP_EEDaSK_SL_EUlSK_E0_NS1_11comp_targetILNS1_3genE0ELNS1_11target_archE4294967295ELNS1_3gpuE0ELNS1_3repE0EEENS1_30default_config_static_selectorELNS0_4arch9wavefront6targetE0EEEvT1_.num_agpr, 0
	.set _ZN7rocprim17ROCPRIM_400000_NS6detail17trampoline_kernelINS0_14default_configENS1_20scan_config_selectorIjEEZZNS1_9scan_implILNS1_25lookback_scan_determinismE0ELb1ELb1ES3_PjS8_jN6hipcub16HIPCUB_304000_NS3SumEjEEDaPvRmT3_T4_T5_mT6_P12ihipStream_tbENKUlT_T0_E_clISt17integral_constantIbLb1EESP_EEDaSK_SL_EUlSK_E0_NS1_11comp_targetILNS1_3genE0ELNS1_11target_archE4294967295ELNS1_3gpuE0ELNS1_3repE0EEENS1_30default_config_static_selectorELNS0_4arch9wavefront6targetE0EEEvT1_.numbered_sgpr, 20
	.set _ZN7rocprim17ROCPRIM_400000_NS6detail17trampoline_kernelINS0_14default_configENS1_20scan_config_selectorIjEEZZNS1_9scan_implILNS1_25lookback_scan_determinismE0ELb1ELb1ES3_PjS8_jN6hipcub16HIPCUB_304000_NS3SumEjEEDaPvRmT3_T4_T5_mT6_P12ihipStream_tbENKUlT_T0_E_clISt17integral_constantIbLb1EESP_EEDaSK_SL_EUlSK_E0_NS1_11comp_targetILNS1_3genE0ELNS1_11target_archE4294967295ELNS1_3gpuE0ELNS1_3repE0EEENS1_30default_config_static_selectorELNS0_4arch9wavefront6targetE0EEEvT1_.num_named_barrier, 0
	.set _ZN7rocprim17ROCPRIM_400000_NS6detail17trampoline_kernelINS0_14default_configENS1_20scan_config_selectorIjEEZZNS1_9scan_implILNS1_25lookback_scan_determinismE0ELb1ELb1ES3_PjS8_jN6hipcub16HIPCUB_304000_NS3SumEjEEDaPvRmT3_T4_T5_mT6_P12ihipStream_tbENKUlT_T0_E_clISt17integral_constantIbLb1EESP_EEDaSK_SL_EUlSK_E0_NS1_11comp_targetILNS1_3genE0ELNS1_11target_archE4294967295ELNS1_3gpuE0ELNS1_3repE0EEENS1_30default_config_static_selectorELNS0_4arch9wavefront6targetE0EEEvT1_.private_seg_size, 0
	.set _ZN7rocprim17ROCPRIM_400000_NS6detail17trampoline_kernelINS0_14default_configENS1_20scan_config_selectorIjEEZZNS1_9scan_implILNS1_25lookback_scan_determinismE0ELb1ELb1ES3_PjS8_jN6hipcub16HIPCUB_304000_NS3SumEjEEDaPvRmT3_T4_T5_mT6_P12ihipStream_tbENKUlT_T0_E_clISt17integral_constantIbLb1EESP_EEDaSK_SL_EUlSK_E0_NS1_11comp_targetILNS1_3genE0ELNS1_11target_archE4294967295ELNS1_3gpuE0ELNS1_3repE0EEENS1_30default_config_static_selectorELNS0_4arch9wavefront6targetE0EEEvT1_.uses_vcc, 1
	.set _ZN7rocprim17ROCPRIM_400000_NS6detail17trampoline_kernelINS0_14default_configENS1_20scan_config_selectorIjEEZZNS1_9scan_implILNS1_25lookback_scan_determinismE0ELb1ELb1ES3_PjS8_jN6hipcub16HIPCUB_304000_NS3SumEjEEDaPvRmT3_T4_T5_mT6_P12ihipStream_tbENKUlT_T0_E_clISt17integral_constantIbLb1EESP_EEDaSK_SL_EUlSK_E0_NS1_11comp_targetILNS1_3genE0ELNS1_11target_archE4294967295ELNS1_3gpuE0ELNS1_3repE0EEENS1_30default_config_static_selectorELNS0_4arch9wavefront6targetE0EEEvT1_.uses_flat_scratch, 0
	.set _ZN7rocprim17ROCPRIM_400000_NS6detail17trampoline_kernelINS0_14default_configENS1_20scan_config_selectorIjEEZZNS1_9scan_implILNS1_25lookback_scan_determinismE0ELb1ELb1ES3_PjS8_jN6hipcub16HIPCUB_304000_NS3SumEjEEDaPvRmT3_T4_T5_mT6_P12ihipStream_tbENKUlT_T0_E_clISt17integral_constantIbLb1EESP_EEDaSK_SL_EUlSK_E0_NS1_11comp_targetILNS1_3genE0ELNS1_11target_archE4294967295ELNS1_3gpuE0ELNS1_3repE0EEENS1_30default_config_static_selectorELNS0_4arch9wavefront6targetE0EEEvT1_.has_dyn_sized_stack, 0
	.set _ZN7rocprim17ROCPRIM_400000_NS6detail17trampoline_kernelINS0_14default_configENS1_20scan_config_selectorIjEEZZNS1_9scan_implILNS1_25lookback_scan_determinismE0ELb1ELb1ES3_PjS8_jN6hipcub16HIPCUB_304000_NS3SumEjEEDaPvRmT3_T4_T5_mT6_P12ihipStream_tbENKUlT_T0_E_clISt17integral_constantIbLb1EESP_EEDaSK_SL_EUlSK_E0_NS1_11comp_targetILNS1_3genE0ELNS1_11target_archE4294967295ELNS1_3gpuE0ELNS1_3repE0EEENS1_30default_config_static_selectorELNS0_4arch9wavefront6targetE0EEEvT1_.has_recursion, 0
	.set _ZN7rocprim17ROCPRIM_400000_NS6detail17trampoline_kernelINS0_14default_configENS1_20scan_config_selectorIjEEZZNS1_9scan_implILNS1_25lookback_scan_determinismE0ELb1ELb1ES3_PjS8_jN6hipcub16HIPCUB_304000_NS3SumEjEEDaPvRmT3_T4_T5_mT6_P12ihipStream_tbENKUlT_T0_E_clISt17integral_constantIbLb1EESP_EEDaSK_SL_EUlSK_E0_NS1_11comp_targetILNS1_3genE0ELNS1_11target_archE4294967295ELNS1_3gpuE0ELNS1_3repE0EEENS1_30default_config_static_selectorELNS0_4arch9wavefront6targetE0EEEvT1_.has_indirect_call, 0
	.section	.AMDGPU.csdata,"",@progbits
; Kernel info:
; codeLenInByte = 2320
; TotalNumSgprs: 22
; NumVgprs: 22
; ScratchSize: 0
; MemoryBound: 0
; FloatMode: 240
; IeeeMode: 1
; LDSByteSize: 14336 bytes/workgroup (compile time only)
; SGPRBlocks: 0
; VGPRBlocks: 1
; NumSGPRsForWavesPerEU: 22
; NumVGPRsForWavesPerEU: 22
; NamedBarCnt: 0
; Occupancy: 16
; WaveLimiterHint : 0
; COMPUTE_PGM_RSRC2:SCRATCH_EN: 0
; COMPUTE_PGM_RSRC2:USER_SGPR: 2
; COMPUTE_PGM_RSRC2:TRAP_HANDLER: 0
; COMPUTE_PGM_RSRC2:TGID_X_EN: 1
; COMPUTE_PGM_RSRC2:TGID_Y_EN: 0
; COMPUTE_PGM_RSRC2:TGID_Z_EN: 0
; COMPUTE_PGM_RSRC2:TIDIG_COMP_CNT: 0
	.section	.text._ZN7rocprim17ROCPRIM_400000_NS6detail17trampoline_kernelINS0_14default_configENS1_20scan_config_selectorIjEEZZNS1_9scan_implILNS1_25lookback_scan_determinismE0ELb1ELb1ES3_PjS8_jN6hipcub16HIPCUB_304000_NS3SumEjEEDaPvRmT3_T4_T5_mT6_P12ihipStream_tbENKUlT_T0_E_clISt17integral_constantIbLb1EESP_EEDaSK_SL_EUlSK_E0_NS1_11comp_targetILNS1_3genE5ELNS1_11target_archE942ELNS1_3gpuE9ELNS1_3repE0EEENS1_30default_config_static_selectorELNS0_4arch9wavefront6targetE0EEEvT1_,"axG",@progbits,_ZN7rocprim17ROCPRIM_400000_NS6detail17trampoline_kernelINS0_14default_configENS1_20scan_config_selectorIjEEZZNS1_9scan_implILNS1_25lookback_scan_determinismE0ELb1ELb1ES3_PjS8_jN6hipcub16HIPCUB_304000_NS3SumEjEEDaPvRmT3_T4_T5_mT6_P12ihipStream_tbENKUlT_T0_E_clISt17integral_constantIbLb1EESP_EEDaSK_SL_EUlSK_E0_NS1_11comp_targetILNS1_3genE5ELNS1_11target_archE942ELNS1_3gpuE9ELNS1_3repE0EEENS1_30default_config_static_selectorELNS0_4arch9wavefront6targetE0EEEvT1_,comdat
	.protected	_ZN7rocprim17ROCPRIM_400000_NS6detail17trampoline_kernelINS0_14default_configENS1_20scan_config_selectorIjEEZZNS1_9scan_implILNS1_25lookback_scan_determinismE0ELb1ELb1ES3_PjS8_jN6hipcub16HIPCUB_304000_NS3SumEjEEDaPvRmT3_T4_T5_mT6_P12ihipStream_tbENKUlT_T0_E_clISt17integral_constantIbLb1EESP_EEDaSK_SL_EUlSK_E0_NS1_11comp_targetILNS1_3genE5ELNS1_11target_archE942ELNS1_3gpuE9ELNS1_3repE0EEENS1_30default_config_static_selectorELNS0_4arch9wavefront6targetE0EEEvT1_ ; -- Begin function _ZN7rocprim17ROCPRIM_400000_NS6detail17trampoline_kernelINS0_14default_configENS1_20scan_config_selectorIjEEZZNS1_9scan_implILNS1_25lookback_scan_determinismE0ELb1ELb1ES3_PjS8_jN6hipcub16HIPCUB_304000_NS3SumEjEEDaPvRmT3_T4_T5_mT6_P12ihipStream_tbENKUlT_T0_E_clISt17integral_constantIbLb1EESP_EEDaSK_SL_EUlSK_E0_NS1_11comp_targetILNS1_3genE5ELNS1_11target_archE942ELNS1_3gpuE9ELNS1_3repE0EEENS1_30default_config_static_selectorELNS0_4arch9wavefront6targetE0EEEvT1_
	.globl	_ZN7rocprim17ROCPRIM_400000_NS6detail17trampoline_kernelINS0_14default_configENS1_20scan_config_selectorIjEEZZNS1_9scan_implILNS1_25lookback_scan_determinismE0ELb1ELb1ES3_PjS8_jN6hipcub16HIPCUB_304000_NS3SumEjEEDaPvRmT3_T4_T5_mT6_P12ihipStream_tbENKUlT_T0_E_clISt17integral_constantIbLb1EESP_EEDaSK_SL_EUlSK_E0_NS1_11comp_targetILNS1_3genE5ELNS1_11target_archE942ELNS1_3gpuE9ELNS1_3repE0EEENS1_30default_config_static_selectorELNS0_4arch9wavefront6targetE0EEEvT1_
	.p2align	8
	.type	_ZN7rocprim17ROCPRIM_400000_NS6detail17trampoline_kernelINS0_14default_configENS1_20scan_config_selectorIjEEZZNS1_9scan_implILNS1_25lookback_scan_determinismE0ELb1ELb1ES3_PjS8_jN6hipcub16HIPCUB_304000_NS3SumEjEEDaPvRmT3_T4_T5_mT6_P12ihipStream_tbENKUlT_T0_E_clISt17integral_constantIbLb1EESP_EEDaSK_SL_EUlSK_E0_NS1_11comp_targetILNS1_3genE5ELNS1_11target_archE942ELNS1_3gpuE9ELNS1_3repE0EEENS1_30default_config_static_selectorELNS0_4arch9wavefront6targetE0EEEvT1_,@function
_ZN7rocprim17ROCPRIM_400000_NS6detail17trampoline_kernelINS0_14default_configENS1_20scan_config_selectorIjEEZZNS1_9scan_implILNS1_25lookback_scan_determinismE0ELb1ELb1ES3_PjS8_jN6hipcub16HIPCUB_304000_NS3SumEjEEDaPvRmT3_T4_T5_mT6_P12ihipStream_tbENKUlT_T0_E_clISt17integral_constantIbLb1EESP_EEDaSK_SL_EUlSK_E0_NS1_11comp_targetILNS1_3genE5ELNS1_11target_archE942ELNS1_3gpuE9ELNS1_3repE0EEENS1_30default_config_static_selectorELNS0_4arch9wavefront6targetE0EEEvT1_: ; @_ZN7rocprim17ROCPRIM_400000_NS6detail17trampoline_kernelINS0_14default_configENS1_20scan_config_selectorIjEEZZNS1_9scan_implILNS1_25lookback_scan_determinismE0ELb1ELb1ES3_PjS8_jN6hipcub16HIPCUB_304000_NS3SumEjEEDaPvRmT3_T4_T5_mT6_P12ihipStream_tbENKUlT_T0_E_clISt17integral_constantIbLb1EESP_EEDaSK_SL_EUlSK_E0_NS1_11comp_targetILNS1_3genE5ELNS1_11target_archE942ELNS1_3gpuE9ELNS1_3repE0EEENS1_30default_config_static_selectorELNS0_4arch9wavefront6targetE0EEEvT1_
; %bb.0:
	.section	.rodata,"a",@progbits
	.p2align	6, 0x0
	.amdhsa_kernel _ZN7rocprim17ROCPRIM_400000_NS6detail17trampoline_kernelINS0_14default_configENS1_20scan_config_selectorIjEEZZNS1_9scan_implILNS1_25lookback_scan_determinismE0ELb1ELb1ES3_PjS8_jN6hipcub16HIPCUB_304000_NS3SumEjEEDaPvRmT3_T4_T5_mT6_P12ihipStream_tbENKUlT_T0_E_clISt17integral_constantIbLb1EESP_EEDaSK_SL_EUlSK_E0_NS1_11comp_targetILNS1_3genE5ELNS1_11target_archE942ELNS1_3gpuE9ELNS1_3repE0EEENS1_30default_config_static_selectorELNS0_4arch9wavefront6targetE0EEEvT1_
		.amdhsa_group_segment_fixed_size 0
		.amdhsa_private_segment_fixed_size 0
		.amdhsa_kernarg_size 32
		.amdhsa_user_sgpr_count 2
		.amdhsa_user_sgpr_dispatch_ptr 0
		.amdhsa_user_sgpr_queue_ptr 0
		.amdhsa_user_sgpr_kernarg_segment_ptr 1
		.amdhsa_user_sgpr_dispatch_id 0
		.amdhsa_user_sgpr_kernarg_preload_length 0
		.amdhsa_user_sgpr_kernarg_preload_offset 0
		.amdhsa_user_sgpr_private_segment_size 0
		.amdhsa_wavefront_size32 1
		.amdhsa_uses_dynamic_stack 0
		.amdhsa_enable_private_segment 0
		.amdhsa_system_sgpr_workgroup_id_x 1
		.amdhsa_system_sgpr_workgroup_id_y 0
		.amdhsa_system_sgpr_workgroup_id_z 0
		.amdhsa_system_sgpr_workgroup_info 0
		.amdhsa_system_vgpr_workitem_id 0
		.amdhsa_next_free_vgpr 1
		.amdhsa_next_free_sgpr 1
		.amdhsa_named_barrier_count 0
		.amdhsa_reserve_vcc 0
		.amdhsa_float_round_mode_32 0
		.amdhsa_float_round_mode_16_64 0
		.amdhsa_float_denorm_mode_32 3
		.amdhsa_float_denorm_mode_16_64 3
		.amdhsa_fp16_overflow 0
		.amdhsa_memory_ordered 1
		.amdhsa_forward_progress 1
		.amdhsa_inst_pref_size 0
		.amdhsa_round_robin_scheduling 0
		.amdhsa_exception_fp_ieee_invalid_op 0
		.amdhsa_exception_fp_denorm_src 0
		.amdhsa_exception_fp_ieee_div_zero 0
		.amdhsa_exception_fp_ieee_overflow 0
		.amdhsa_exception_fp_ieee_underflow 0
		.amdhsa_exception_fp_ieee_inexact 0
		.amdhsa_exception_int_div_zero 0
	.end_amdhsa_kernel
	.section	.text._ZN7rocprim17ROCPRIM_400000_NS6detail17trampoline_kernelINS0_14default_configENS1_20scan_config_selectorIjEEZZNS1_9scan_implILNS1_25lookback_scan_determinismE0ELb1ELb1ES3_PjS8_jN6hipcub16HIPCUB_304000_NS3SumEjEEDaPvRmT3_T4_T5_mT6_P12ihipStream_tbENKUlT_T0_E_clISt17integral_constantIbLb1EESP_EEDaSK_SL_EUlSK_E0_NS1_11comp_targetILNS1_3genE5ELNS1_11target_archE942ELNS1_3gpuE9ELNS1_3repE0EEENS1_30default_config_static_selectorELNS0_4arch9wavefront6targetE0EEEvT1_,"axG",@progbits,_ZN7rocprim17ROCPRIM_400000_NS6detail17trampoline_kernelINS0_14default_configENS1_20scan_config_selectorIjEEZZNS1_9scan_implILNS1_25lookback_scan_determinismE0ELb1ELb1ES3_PjS8_jN6hipcub16HIPCUB_304000_NS3SumEjEEDaPvRmT3_T4_T5_mT6_P12ihipStream_tbENKUlT_T0_E_clISt17integral_constantIbLb1EESP_EEDaSK_SL_EUlSK_E0_NS1_11comp_targetILNS1_3genE5ELNS1_11target_archE942ELNS1_3gpuE9ELNS1_3repE0EEENS1_30default_config_static_selectorELNS0_4arch9wavefront6targetE0EEEvT1_,comdat
.Lfunc_end39:
	.size	_ZN7rocprim17ROCPRIM_400000_NS6detail17trampoline_kernelINS0_14default_configENS1_20scan_config_selectorIjEEZZNS1_9scan_implILNS1_25lookback_scan_determinismE0ELb1ELb1ES3_PjS8_jN6hipcub16HIPCUB_304000_NS3SumEjEEDaPvRmT3_T4_T5_mT6_P12ihipStream_tbENKUlT_T0_E_clISt17integral_constantIbLb1EESP_EEDaSK_SL_EUlSK_E0_NS1_11comp_targetILNS1_3genE5ELNS1_11target_archE942ELNS1_3gpuE9ELNS1_3repE0EEENS1_30default_config_static_selectorELNS0_4arch9wavefront6targetE0EEEvT1_, .Lfunc_end39-_ZN7rocprim17ROCPRIM_400000_NS6detail17trampoline_kernelINS0_14default_configENS1_20scan_config_selectorIjEEZZNS1_9scan_implILNS1_25lookback_scan_determinismE0ELb1ELb1ES3_PjS8_jN6hipcub16HIPCUB_304000_NS3SumEjEEDaPvRmT3_T4_T5_mT6_P12ihipStream_tbENKUlT_T0_E_clISt17integral_constantIbLb1EESP_EEDaSK_SL_EUlSK_E0_NS1_11comp_targetILNS1_3genE5ELNS1_11target_archE942ELNS1_3gpuE9ELNS1_3repE0EEENS1_30default_config_static_selectorELNS0_4arch9wavefront6targetE0EEEvT1_
                                        ; -- End function
	.set _ZN7rocprim17ROCPRIM_400000_NS6detail17trampoline_kernelINS0_14default_configENS1_20scan_config_selectorIjEEZZNS1_9scan_implILNS1_25lookback_scan_determinismE0ELb1ELb1ES3_PjS8_jN6hipcub16HIPCUB_304000_NS3SumEjEEDaPvRmT3_T4_T5_mT6_P12ihipStream_tbENKUlT_T0_E_clISt17integral_constantIbLb1EESP_EEDaSK_SL_EUlSK_E0_NS1_11comp_targetILNS1_3genE5ELNS1_11target_archE942ELNS1_3gpuE9ELNS1_3repE0EEENS1_30default_config_static_selectorELNS0_4arch9wavefront6targetE0EEEvT1_.num_vgpr, 0
	.set _ZN7rocprim17ROCPRIM_400000_NS6detail17trampoline_kernelINS0_14default_configENS1_20scan_config_selectorIjEEZZNS1_9scan_implILNS1_25lookback_scan_determinismE0ELb1ELb1ES3_PjS8_jN6hipcub16HIPCUB_304000_NS3SumEjEEDaPvRmT3_T4_T5_mT6_P12ihipStream_tbENKUlT_T0_E_clISt17integral_constantIbLb1EESP_EEDaSK_SL_EUlSK_E0_NS1_11comp_targetILNS1_3genE5ELNS1_11target_archE942ELNS1_3gpuE9ELNS1_3repE0EEENS1_30default_config_static_selectorELNS0_4arch9wavefront6targetE0EEEvT1_.num_agpr, 0
	.set _ZN7rocprim17ROCPRIM_400000_NS6detail17trampoline_kernelINS0_14default_configENS1_20scan_config_selectorIjEEZZNS1_9scan_implILNS1_25lookback_scan_determinismE0ELb1ELb1ES3_PjS8_jN6hipcub16HIPCUB_304000_NS3SumEjEEDaPvRmT3_T4_T5_mT6_P12ihipStream_tbENKUlT_T0_E_clISt17integral_constantIbLb1EESP_EEDaSK_SL_EUlSK_E0_NS1_11comp_targetILNS1_3genE5ELNS1_11target_archE942ELNS1_3gpuE9ELNS1_3repE0EEENS1_30default_config_static_selectorELNS0_4arch9wavefront6targetE0EEEvT1_.numbered_sgpr, 0
	.set _ZN7rocprim17ROCPRIM_400000_NS6detail17trampoline_kernelINS0_14default_configENS1_20scan_config_selectorIjEEZZNS1_9scan_implILNS1_25lookback_scan_determinismE0ELb1ELb1ES3_PjS8_jN6hipcub16HIPCUB_304000_NS3SumEjEEDaPvRmT3_T4_T5_mT6_P12ihipStream_tbENKUlT_T0_E_clISt17integral_constantIbLb1EESP_EEDaSK_SL_EUlSK_E0_NS1_11comp_targetILNS1_3genE5ELNS1_11target_archE942ELNS1_3gpuE9ELNS1_3repE0EEENS1_30default_config_static_selectorELNS0_4arch9wavefront6targetE0EEEvT1_.num_named_barrier, 0
	.set _ZN7rocprim17ROCPRIM_400000_NS6detail17trampoline_kernelINS0_14default_configENS1_20scan_config_selectorIjEEZZNS1_9scan_implILNS1_25lookback_scan_determinismE0ELb1ELb1ES3_PjS8_jN6hipcub16HIPCUB_304000_NS3SumEjEEDaPvRmT3_T4_T5_mT6_P12ihipStream_tbENKUlT_T0_E_clISt17integral_constantIbLb1EESP_EEDaSK_SL_EUlSK_E0_NS1_11comp_targetILNS1_3genE5ELNS1_11target_archE942ELNS1_3gpuE9ELNS1_3repE0EEENS1_30default_config_static_selectorELNS0_4arch9wavefront6targetE0EEEvT1_.private_seg_size, 0
	.set _ZN7rocprim17ROCPRIM_400000_NS6detail17trampoline_kernelINS0_14default_configENS1_20scan_config_selectorIjEEZZNS1_9scan_implILNS1_25lookback_scan_determinismE0ELb1ELb1ES3_PjS8_jN6hipcub16HIPCUB_304000_NS3SumEjEEDaPvRmT3_T4_T5_mT6_P12ihipStream_tbENKUlT_T0_E_clISt17integral_constantIbLb1EESP_EEDaSK_SL_EUlSK_E0_NS1_11comp_targetILNS1_3genE5ELNS1_11target_archE942ELNS1_3gpuE9ELNS1_3repE0EEENS1_30default_config_static_selectorELNS0_4arch9wavefront6targetE0EEEvT1_.uses_vcc, 0
	.set _ZN7rocprim17ROCPRIM_400000_NS6detail17trampoline_kernelINS0_14default_configENS1_20scan_config_selectorIjEEZZNS1_9scan_implILNS1_25lookback_scan_determinismE0ELb1ELb1ES3_PjS8_jN6hipcub16HIPCUB_304000_NS3SumEjEEDaPvRmT3_T4_T5_mT6_P12ihipStream_tbENKUlT_T0_E_clISt17integral_constantIbLb1EESP_EEDaSK_SL_EUlSK_E0_NS1_11comp_targetILNS1_3genE5ELNS1_11target_archE942ELNS1_3gpuE9ELNS1_3repE0EEENS1_30default_config_static_selectorELNS0_4arch9wavefront6targetE0EEEvT1_.uses_flat_scratch, 0
	.set _ZN7rocprim17ROCPRIM_400000_NS6detail17trampoline_kernelINS0_14default_configENS1_20scan_config_selectorIjEEZZNS1_9scan_implILNS1_25lookback_scan_determinismE0ELb1ELb1ES3_PjS8_jN6hipcub16HIPCUB_304000_NS3SumEjEEDaPvRmT3_T4_T5_mT6_P12ihipStream_tbENKUlT_T0_E_clISt17integral_constantIbLb1EESP_EEDaSK_SL_EUlSK_E0_NS1_11comp_targetILNS1_3genE5ELNS1_11target_archE942ELNS1_3gpuE9ELNS1_3repE0EEENS1_30default_config_static_selectorELNS0_4arch9wavefront6targetE0EEEvT1_.has_dyn_sized_stack, 0
	.set _ZN7rocprim17ROCPRIM_400000_NS6detail17trampoline_kernelINS0_14default_configENS1_20scan_config_selectorIjEEZZNS1_9scan_implILNS1_25lookback_scan_determinismE0ELb1ELb1ES3_PjS8_jN6hipcub16HIPCUB_304000_NS3SumEjEEDaPvRmT3_T4_T5_mT6_P12ihipStream_tbENKUlT_T0_E_clISt17integral_constantIbLb1EESP_EEDaSK_SL_EUlSK_E0_NS1_11comp_targetILNS1_3genE5ELNS1_11target_archE942ELNS1_3gpuE9ELNS1_3repE0EEENS1_30default_config_static_selectorELNS0_4arch9wavefront6targetE0EEEvT1_.has_recursion, 0
	.set _ZN7rocprim17ROCPRIM_400000_NS6detail17trampoline_kernelINS0_14default_configENS1_20scan_config_selectorIjEEZZNS1_9scan_implILNS1_25lookback_scan_determinismE0ELb1ELb1ES3_PjS8_jN6hipcub16HIPCUB_304000_NS3SumEjEEDaPvRmT3_T4_T5_mT6_P12ihipStream_tbENKUlT_T0_E_clISt17integral_constantIbLb1EESP_EEDaSK_SL_EUlSK_E0_NS1_11comp_targetILNS1_3genE5ELNS1_11target_archE942ELNS1_3gpuE9ELNS1_3repE0EEENS1_30default_config_static_selectorELNS0_4arch9wavefront6targetE0EEEvT1_.has_indirect_call, 0
	.section	.AMDGPU.csdata,"",@progbits
; Kernel info:
; codeLenInByte = 0
; TotalNumSgprs: 0
; NumVgprs: 0
; ScratchSize: 0
; MemoryBound: 0
; FloatMode: 240
; IeeeMode: 1
; LDSByteSize: 0 bytes/workgroup (compile time only)
; SGPRBlocks: 0
; VGPRBlocks: 0
; NumSGPRsForWavesPerEU: 1
; NumVGPRsForWavesPerEU: 1
; NamedBarCnt: 0
; Occupancy: 16
; WaveLimiterHint : 0
; COMPUTE_PGM_RSRC2:SCRATCH_EN: 0
; COMPUTE_PGM_RSRC2:USER_SGPR: 2
; COMPUTE_PGM_RSRC2:TRAP_HANDLER: 0
; COMPUTE_PGM_RSRC2:TGID_X_EN: 1
; COMPUTE_PGM_RSRC2:TGID_Y_EN: 0
; COMPUTE_PGM_RSRC2:TGID_Z_EN: 0
; COMPUTE_PGM_RSRC2:TIDIG_COMP_CNT: 0
	.section	.text._ZN7rocprim17ROCPRIM_400000_NS6detail17trampoline_kernelINS0_14default_configENS1_20scan_config_selectorIjEEZZNS1_9scan_implILNS1_25lookback_scan_determinismE0ELb1ELb1ES3_PjS8_jN6hipcub16HIPCUB_304000_NS3SumEjEEDaPvRmT3_T4_T5_mT6_P12ihipStream_tbENKUlT_T0_E_clISt17integral_constantIbLb1EESP_EEDaSK_SL_EUlSK_E0_NS1_11comp_targetILNS1_3genE4ELNS1_11target_archE910ELNS1_3gpuE8ELNS1_3repE0EEENS1_30default_config_static_selectorELNS0_4arch9wavefront6targetE0EEEvT1_,"axG",@progbits,_ZN7rocprim17ROCPRIM_400000_NS6detail17trampoline_kernelINS0_14default_configENS1_20scan_config_selectorIjEEZZNS1_9scan_implILNS1_25lookback_scan_determinismE0ELb1ELb1ES3_PjS8_jN6hipcub16HIPCUB_304000_NS3SumEjEEDaPvRmT3_T4_T5_mT6_P12ihipStream_tbENKUlT_T0_E_clISt17integral_constantIbLb1EESP_EEDaSK_SL_EUlSK_E0_NS1_11comp_targetILNS1_3genE4ELNS1_11target_archE910ELNS1_3gpuE8ELNS1_3repE0EEENS1_30default_config_static_selectorELNS0_4arch9wavefront6targetE0EEEvT1_,comdat
	.protected	_ZN7rocprim17ROCPRIM_400000_NS6detail17trampoline_kernelINS0_14default_configENS1_20scan_config_selectorIjEEZZNS1_9scan_implILNS1_25lookback_scan_determinismE0ELb1ELb1ES3_PjS8_jN6hipcub16HIPCUB_304000_NS3SumEjEEDaPvRmT3_T4_T5_mT6_P12ihipStream_tbENKUlT_T0_E_clISt17integral_constantIbLb1EESP_EEDaSK_SL_EUlSK_E0_NS1_11comp_targetILNS1_3genE4ELNS1_11target_archE910ELNS1_3gpuE8ELNS1_3repE0EEENS1_30default_config_static_selectorELNS0_4arch9wavefront6targetE0EEEvT1_ ; -- Begin function _ZN7rocprim17ROCPRIM_400000_NS6detail17trampoline_kernelINS0_14default_configENS1_20scan_config_selectorIjEEZZNS1_9scan_implILNS1_25lookback_scan_determinismE0ELb1ELb1ES3_PjS8_jN6hipcub16HIPCUB_304000_NS3SumEjEEDaPvRmT3_T4_T5_mT6_P12ihipStream_tbENKUlT_T0_E_clISt17integral_constantIbLb1EESP_EEDaSK_SL_EUlSK_E0_NS1_11comp_targetILNS1_3genE4ELNS1_11target_archE910ELNS1_3gpuE8ELNS1_3repE0EEENS1_30default_config_static_selectorELNS0_4arch9wavefront6targetE0EEEvT1_
	.globl	_ZN7rocprim17ROCPRIM_400000_NS6detail17trampoline_kernelINS0_14default_configENS1_20scan_config_selectorIjEEZZNS1_9scan_implILNS1_25lookback_scan_determinismE0ELb1ELb1ES3_PjS8_jN6hipcub16HIPCUB_304000_NS3SumEjEEDaPvRmT3_T4_T5_mT6_P12ihipStream_tbENKUlT_T0_E_clISt17integral_constantIbLb1EESP_EEDaSK_SL_EUlSK_E0_NS1_11comp_targetILNS1_3genE4ELNS1_11target_archE910ELNS1_3gpuE8ELNS1_3repE0EEENS1_30default_config_static_selectorELNS0_4arch9wavefront6targetE0EEEvT1_
	.p2align	8
	.type	_ZN7rocprim17ROCPRIM_400000_NS6detail17trampoline_kernelINS0_14default_configENS1_20scan_config_selectorIjEEZZNS1_9scan_implILNS1_25lookback_scan_determinismE0ELb1ELb1ES3_PjS8_jN6hipcub16HIPCUB_304000_NS3SumEjEEDaPvRmT3_T4_T5_mT6_P12ihipStream_tbENKUlT_T0_E_clISt17integral_constantIbLb1EESP_EEDaSK_SL_EUlSK_E0_NS1_11comp_targetILNS1_3genE4ELNS1_11target_archE910ELNS1_3gpuE8ELNS1_3repE0EEENS1_30default_config_static_selectorELNS0_4arch9wavefront6targetE0EEEvT1_,@function
_ZN7rocprim17ROCPRIM_400000_NS6detail17trampoline_kernelINS0_14default_configENS1_20scan_config_selectorIjEEZZNS1_9scan_implILNS1_25lookback_scan_determinismE0ELb1ELb1ES3_PjS8_jN6hipcub16HIPCUB_304000_NS3SumEjEEDaPvRmT3_T4_T5_mT6_P12ihipStream_tbENKUlT_T0_E_clISt17integral_constantIbLb1EESP_EEDaSK_SL_EUlSK_E0_NS1_11comp_targetILNS1_3genE4ELNS1_11target_archE910ELNS1_3gpuE8ELNS1_3repE0EEENS1_30default_config_static_selectorELNS0_4arch9wavefront6targetE0EEEvT1_: ; @_ZN7rocprim17ROCPRIM_400000_NS6detail17trampoline_kernelINS0_14default_configENS1_20scan_config_selectorIjEEZZNS1_9scan_implILNS1_25lookback_scan_determinismE0ELb1ELb1ES3_PjS8_jN6hipcub16HIPCUB_304000_NS3SumEjEEDaPvRmT3_T4_T5_mT6_P12ihipStream_tbENKUlT_T0_E_clISt17integral_constantIbLb1EESP_EEDaSK_SL_EUlSK_E0_NS1_11comp_targetILNS1_3genE4ELNS1_11target_archE910ELNS1_3gpuE8ELNS1_3repE0EEENS1_30default_config_static_selectorELNS0_4arch9wavefront6targetE0EEEvT1_
; %bb.0:
	.section	.rodata,"a",@progbits
	.p2align	6, 0x0
	.amdhsa_kernel _ZN7rocprim17ROCPRIM_400000_NS6detail17trampoline_kernelINS0_14default_configENS1_20scan_config_selectorIjEEZZNS1_9scan_implILNS1_25lookback_scan_determinismE0ELb1ELb1ES3_PjS8_jN6hipcub16HIPCUB_304000_NS3SumEjEEDaPvRmT3_T4_T5_mT6_P12ihipStream_tbENKUlT_T0_E_clISt17integral_constantIbLb1EESP_EEDaSK_SL_EUlSK_E0_NS1_11comp_targetILNS1_3genE4ELNS1_11target_archE910ELNS1_3gpuE8ELNS1_3repE0EEENS1_30default_config_static_selectorELNS0_4arch9wavefront6targetE0EEEvT1_
		.amdhsa_group_segment_fixed_size 0
		.amdhsa_private_segment_fixed_size 0
		.amdhsa_kernarg_size 32
		.amdhsa_user_sgpr_count 2
		.amdhsa_user_sgpr_dispatch_ptr 0
		.amdhsa_user_sgpr_queue_ptr 0
		.amdhsa_user_sgpr_kernarg_segment_ptr 1
		.amdhsa_user_sgpr_dispatch_id 0
		.amdhsa_user_sgpr_kernarg_preload_length 0
		.amdhsa_user_sgpr_kernarg_preload_offset 0
		.amdhsa_user_sgpr_private_segment_size 0
		.amdhsa_wavefront_size32 1
		.amdhsa_uses_dynamic_stack 0
		.amdhsa_enable_private_segment 0
		.amdhsa_system_sgpr_workgroup_id_x 1
		.amdhsa_system_sgpr_workgroup_id_y 0
		.amdhsa_system_sgpr_workgroup_id_z 0
		.amdhsa_system_sgpr_workgroup_info 0
		.amdhsa_system_vgpr_workitem_id 0
		.amdhsa_next_free_vgpr 1
		.amdhsa_next_free_sgpr 1
		.amdhsa_named_barrier_count 0
		.amdhsa_reserve_vcc 0
		.amdhsa_float_round_mode_32 0
		.amdhsa_float_round_mode_16_64 0
		.amdhsa_float_denorm_mode_32 3
		.amdhsa_float_denorm_mode_16_64 3
		.amdhsa_fp16_overflow 0
		.amdhsa_memory_ordered 1
		.amdhsa_forward_progress 1
		.amdhsa_inst_pref_size 0
		.amdhsa_round_robin_scheduling 0
		.amdhsa_exception_fp_ieee_invalid_op 0
		.amdhsa_exception_fp_denorm_src 0
		.amdhsa_exception_fp_ieee_div_zero 0
		.amdhsa_exception_fp_ieee_overflow 0
		.amdhsa_exception_fp_ieee_underflow 0
		.amdhsa_exception_fp_ieee_inexact 0
		.amdhsa_exception_int_div_zero 0
	.end_amdhsa_kernel
	.section	.text._ZN7rocprim17ROCPRIM_400000_NS6detail17trampoline_kernelINS0_14default_configENS1_20scan_config_selectorIjEEZZNS1_9scan_implILNS1_25lookback_scan_determinismE0ELb1ELb1ES3_PjS8_jN6hipcub16HIPCUB_304000_NS3SumEjEEDaPvRmT3_T4_T5_mT6_P12ihipStream_tbENKUlT_T0_E_clISt17integral_constantIbLb1EESP_EEDaSK_SL_EUlSK_E0_NS1_11comp_targetILNS1_3genE4ELNS1_11target_archE910ELNS1_3gpuE8ELNS1_3repE0EEENS1_30default_config_static_selectorELNS0_4arch9wavefront6targetE0EEEvT1_,"axG",@progbits,_ZN7rocprim17ROCPRIM_400000_NS6detail17trampoline_kernelINS0_14default_configENS1_20scan_config_selectorIjEEZZNS1_9scan_implILNS1_25lookback_scan_determinismE0ELb1ELb1ES3_PjS8_jN6hipcub16HIPCUB_304000_NS3SumEjEEDaPvRmT3_T4_T5_mT6_P12ihipStream_tbENKUlT_T0_E_clISt17integral_constantIbLb1EESP_EEDaSK_SL_EUlSK_E0_NS1_11comp_targetILNS1_3genE4ELNS1_11target_archE910ELNS1_3gpuE8ELNS1_3repE0EEENS1_30default_config_static_selectorELNS0_4arch9wavefront6targetE0EEEvT1_,comdat
.Lfunc_end40:
	.size	_ZN7rocprim17ROCPRIM_400000_NS6detail17trampoline_kernelINS0_14default_configENS1_20scan_config_selectorIjEEZZNS1_9scan_implILNS1_25lookback_scan_determinismE0ELb1ELb1ES3_PjS8_jN6hipcub16HIPCUB_304000_NS3SumEjEEDaPvRmT3_T4_T5_mT6_P12ihipStream_tbENKUlT_T0_E_clISt17integral_constantIbLb1EESP_EEDaSK_SL_EUlSK_E0_NS1_11comp_targetILNS1_3genE4ELNS1_11target_archE910ELNS1_3gpuE8ELNS1_3repE0EEENS1_30default_config_static_selectorELNS0_4arch9wavefront6targetE0EEEvT1_, .Lfunc_end40-_ZN7rocprim17ROCPRIM_400000_NS6detail17trampoline_kernelINS0_14default_configENS1_20scan_config_selectorIjEEZZNS1_9scan_implILNS1_25lookback_scan_determinismE0ELb1ELb1ES3_PjS8_jN6hipcub16HIPCUB_304000_NS3SumEjEEDaPvRmT3_T4_T5_mT6_P12ihipStream_tbENKUlT_T0_E_clISt17integral_constantIbLb1EESP_EEDaSK_SL_EUlSK_E0_NS1_11comp_targetILNS1_3genE4ELNS1_11target_archE910ELNS1_3gpuE8ELNS1_3repE0EEENS1_30default_config_static_selectorELNS0_4arch9wavefront6targetE0EEEvT1_
                                        ; -- End function
	.set _ZN7rocprim17ROCPRIM_400000_NS6detail17trampoline_kernelINS0_14default_configENS1_20scan_config_selectorIjEEZZNS1_9scan_implILNS1_25lookback_scan_determinismE0ELb1ELb1ES3_PjS8_jN6hipcub16HIPCUB_304000_NS3SumEjEEDaPvRmT3_T4_T5_mT6_P12ihipStream_tbENKUlT_T0_E_clISt17integral_constantIbLb1EESP_EEDaSK_SL_EUlSK_E0_NS1_11comp_targetILNS1_3genE4ELNS1_11target_archE910ELNS1_3gpuE8ELNS1_3repE0EEENS1_30default_config_static_selectorELNS0_4arch9wavefront6targetE0EEEvT1_.num_vgpr, 0
	.set _ZN7rocprim17ROCPRIM_400000_NS6detail17trampoline_kernelINS0_14default_configENS1_20scan_config_selectorIjEEZZNS1_9scan_implILNS1_25lookback_scan_determinismE0ELb1ELb1ES3_PjS8_jN6hipcub16HIPCUB_304000_NS3SumEjEEDaPvRmT3_T4_T5_mT6_P12ihipStream_tbENKUlT_T0_E_clISt17integral_constantIbLb1EESP_EEDaSK_SL_EUlSK_E0_NS1_11comp_targetILNS1_3genE4ELNS1_11target_archE910ELNS1_3gpuE8ELNS1_3repE0EEENS1_30default_config_static_selectorELNS0_4arch9wavefront6targetE0EEEvT1_.num_agpr, 0
	.set _ZN7rocprim17ROCPRIM_400000_NS6detail17trampoline_kernelINS0_14default_configENS1_20scan_config_selectorIjEEZZNS1_9scan_implILNS1_25lookback_scan_determinismE0ELb1ELb1ES3_PjS8_jN6hipcub16HIPCUB_304000_NS3SumEjEEDaPvRmT3_T4_T5_mT6_P12ihipStream_tbENKUlT_T0_E_clISt17integral_constantIbLb1EESP_EEDaSK_SL_EUlSK_E0_NS1_11comp_targetILNS1_3genE4ELNS1_11target_archE910ELNS1_3gpuE8ELNS1_3repE0EEENS1_30default_config_static_selectorELNS0_4arch9wavefront6targetE0EEEvT1_.numbered_sgpr, 0
	.set _ZN7rocprim17ROCPRIM_400000_NS6detail17trampoline_kernelINS0_14default_configENS1_20scan_config_selectorIjEEZZNS1_9scan_implILNS1_25lookback_scan_determinismE0ELb1ELb1ES3_PjS8_jN6hipcub16HIPCUB_304000_NS3SumEjEEDaPvRmT3_T4_T5_mT6_P12ihipStream_tbENKUlT_T0_E_clISt17integral_constantIbLb1EESP_EEDaSK_SL_EUlSK_E0_NS1_11comp_targetILNS1_3genE4ELNS1_11target_archE910ELNS1_3gpuE8ELNS1_3repE0EEENS1_30default_config_static_selectorELNS0_4arch9wavefront6targetE0EEEvT1_.num_named_barrier, 0
	.set _ZN7rocprim17ROCPRIM_400000_NS6detail17trampoline_kernelINS0_14default_configENS1_20scan_config_selectorIjEEZZNS1_9scan_implILNS1_25lookback_scan_determinismE0ELb1ELb1ES3_PjS8_jN6hipcub16HIPCUB_304000_NS3SumEjEEDaPvRmT3_T4_T5_mT6_P12ihipStream_tbENKUlT_T0_E_clISt17integral_constantIbLb1EESP_EEDaSK_SL_EUlSK_E0_NS1_11comp_targetILNS1_3genE4ELNS1_11target_archE910ELNS1_3gpuE8ELNS1_3repE0EEENS1_30default_config_static_selectorELNS0_4arch9wavefront6targetE0EEEvT1_.private_seg_size, 0
	.set _ZN7rocprim17ROCPRIM_400000_NS6detail17trampoline_kernelINS0_14default_configENS1_20scan_config_selectorIjEEZZNS1_9scan_implILNS1_25lookback_scan_determinismE0ELb1ELb1ES3_PjS8_jN6hipcub16HIPCUB_304000_NS3SumEjEEDaPvRmT3_T4_T5_mT6_P12ihipStream_tbENKUlT_T0_E_clISt17integral_constantIbLb1EESP_EEDaSK_SL_EUlSK_E0_NS1_11comp_targetILNS1_3genE4ELNS1_11target_archE910ELNS1_3gpuE8ELNS1_3repE0EEENS1_30default_config_static_selectorELNS0_4arch9wavefront6targetE0EEEvT1_.uses_vcc, 0
	.set _ZN7rocprim17ROCPRIM_400000_NS6detail17trampoline_kernelINS0_14default_configENS1_20scan_config_selectorIjEEZZNS1_9scan_implILNS1_25lookback_scan_determinismE0ELb1ELb1ES3_PjS8_jN6hipcub16HIPCUB_304000_NS3SumEjEEDaPvRmT3_T4_T5_mT6_P12ihipStream_tbENKUlT_T0_E_clISt17integral_constantIbLb1EESP_EEDaSK_SL_EUlSK_E0_NS1_11comp_targetILNS1_3genE4ELNS1_11target_archE910ELNS1_3gpuE8ELNS1_3repE0EEENS1_30default_config_static_selectorELNS0_4arch9wavefront6targetE0EEEvT1_.uses_flat_scratch, 0
	.set _ZN7rocprim17ROCPRIM_400000_NS6detail17trampoline_kernelINS0_14default_configENS1_20scan_config_selectorIjEEZZNS1_9scan_implILNS1_25lookback_scan_determinismE0ELb1ELb1ES3_PjS8_jN6hipcub16HIPCUB_304000_NS3SumEjEEDaPvRmT3_T4_T5_mT6_P12ihipStream_tbENKUlT_T0_E_clISt17integral_constantIbLb1EESP_EEDaSK_SL_EUlSK_E0_NS1_11comp_targetILNS1_3genE4ELNS1_11target_archE910ELNS1_3gpuE8ELNS1_3repE0EEENS1_30default_config_static_selectorELNS0_4arch9wavefront6targetE0EEEvT1_.has_dyn_sized_stack, 0
	.set _ZN7rocprim17ROCPRIM_400000_NS6detail17trampoline_kernelINS0_14default_configENS1_20scan_config_selectorIjEEZZNS1_9scan_implILNS1_25lookback_scan_determinismE0ELb1ELb1ES3_PjS8_jN6hipcub16HIPCUB_304000_NS3SumEjEEDaPvRmT3_T4_T5_mT6_P12ihipStream_tbENKUlT_T0_E_clISt17integral_constantIbLb1EESP_EEDaSK_SL_EUlSK_E0_NS1_11comp_targetILNS1_3genE4ELNS1_11target_archE910ELNS1_3gpuE8ELNS1_3repE0EEENS1_30default_config_static_selectorELNS0_4arch9wavefront6targetE0EEEvT1_.has_recursion, 0
	.set _ZN7rocprim17ROCPRIM_400000_NS6detail17trampoline_kernelINS0_14default_configENS1_20scan_config_selectorIjEEZZNS1_9scan_implILNS1_25lookback_scan_determinismE0ELb1ELb1ES3_PjS8_jN6hipcub16HIPCUB_304000_NS3SumEjEEDaPvRmT3_T4_T5_mT6_P12ihipStream_tbENKUlT_T0_E_clISt17integral_constantIbLb1EESP_EEDaSK_SL_EUlSK_E0_NS1_11comp_targetILNS1_3genE4ELNS1_11target_archE910ELNS1_3gpuE8ELNS1_3repE0EEENS1_30default_config_static_selectorELNS0_4arch9wavefront6targetE0EEEvT1_.has_indirect_call, 0
	.section	.AMDGPU.csdata,"",@progbits
; Kernel info:
; codeLenInByte = 0
; TotalNumSgprs: 0
; NumVgprs: 0
; ScratchSize: 0
; MemoryBound: 0
; FloatMode: 240
; IeeeMode: 1
; LDSByteSize: 0 bytes/workgroup (compile time only)
; SGPRBlocks: 0
; VGPRBlocks: 0
; NumSGPRsForWavesPerEU: 1
; NumVGPRsForWavesPerEU: 1
; NamedBarCnt: 0
; Occupancy: 16
; WaveLimiterHint : 0
; COMPUTE_PGM_RSRC2:SCRATCH_EN: 0
; COMPUTE_PGM_RSRC2:USER_SGPR: 2
; COMPUTE_PGM_RSRC2:TRAP_HANDLER: 0
; COMPUTE_PGM_RSRC2:TGID_X_EN: 1
; COMPUTE_PGM_RSRC2:TGID_Y_EN: 0
; COMPUTE_PGM_RSRC2:TGID_Z_EN: 0
; COMPUTE_PGM_RSRC2:TIDIG_COMP_CNT: 0
	.section	.text._ZN7rocprim17ROCPRIM_400000_NS6detail17trampoline_kernelINS0_14default_configENS1_20scan_config_selectorIjEEZZNS1_9scan_implILNS1_25lookback_scan_determinismE0ELb1ELb1ES3_PjS8_jN6hipcub16HIPCUB_304000_NS3SumEjEEDaPvRmT3_T4_T5_mT6_P12ihipStream_tbENKUlT_T0_E_clISt17integral_constantIbLb1EESP_EEDaSK_SL_EUlSK_E0_NS1_11comp_targetILNS1_3genE3ELNS1_11target_archE908ELNS1_3gpuE7ELNS1_3repE0EEENS1_30default_config_static_selectorELNS0_4arch9wavefront6targetE0EEEvT1_,"axG",@progbits,_ZN7rocprim17ROCPRIM_400000_NS6detail17trampoline_kernelINS0_14default_configENS1_20scan_config_selectorIjEEZZNS1_9scan_implILNS1_25lookback_scan_determinismE0ELb1ELb1ES3_PjS8_jN6hipcub16HIPCUB_304000_NS3SumEjEEDaPvRmT3_T4_T5_mT6_P12ihipStream_tbENKUlT_T0_E_clISt17integral_constantIbLb1EESP_EEDaSK_SL_EUlSK_E0_NS1_11comp_targetILNS1_3genE3ELNS1_11target_archE908ELNS1_3gpuE7ELNS1_3repE0EEENS1_30default_config_static_selectorELNS0_4arch9wavefront6targetE0EEEvT1_,comdat
	.protected	_ZN7rocprim17ROCPRIM_400000_NS6detail17trampoline_kernelINS0_14default_configENS1_20scan_config_selectorIjEEZZNS1_9scan_implILNS1_25lookback_scan_determinismE0ELb1ELb1ES3_PjS8_jN6hipcub16HIPCUB_304000_NS3SumEjEEDaPvRmT3_T4_T5_mT6_P12ihipStream_tbENKUlT_T0_E_clISt17integral_constantIbLb1EESP_EEDaSK_SL_EUlSK_E0_NS1_11comp_targetILNS1_3genE3ELNS1_11target_archE908ELNS1_3gpuE7ELNS1_3repE0EEENS1_30default_config_static_selectorELNS0_4arch9wavefront6targetE0EEEvT1_ ; -- Begin function _ZN7rocprim17ROCPRIM_400000_NS6detail17trampoline_kernelINS0_14default_configENS1_20scan_config_selectorIjEEZZNS1_9scan_implILNS1_25lookback_scan_determinismE0ELb1ELb1ES3_PjS8_jN6hipcub16HIPCUB_304000_NS3SumEjEEDaPvRmT3_T4_T5_mT6_P12ihipStream_tbENKUlT_T0_E_clISt17integral_constantIbLb1EESP_EEDaSK_SL_EUlSK_E0_NS1_11comp_targetILNS1_3genE3ELNS1_11target_archE908ELNS1_3gpuE7ELNS1_3repE0EEENS1_30default_config_static_selectorELNS0_4arch9wavefront6targetE0EEEvT1_
	.globl	_ZN7rocprim17ROCPRIM_400000_NS6detail17trampoline_kernelINS0_14default_configENS1_20scan_config_selectorIjEEZZNS1_9scan_implILNS1_25lookback_scan_determinismE0ELb1ELb1ES3_PjS8_jN6hipcub16HIPCUB_304000_NS3SumEjEEDaPvRmT3_T4_T5_mT6_P12ihipStream_tbENKUlT_T0_E_clISt17integral_constantIbLb1EESP_EEDaSK_SL_EUlSK_E0_NS1_11comp_targetILNS1_3genE3ELNS1_11target_archE908ELNS1_3gpuE7ELNS1_3repE0EEENS1_30default_config_static_selectorELNS0_4arch9wavefront6targetE0EEEvT1_
	.p2align	8
	.type	_ZN7rocprim17ROCPRIM_400000_NS6detail17trampoline_kernelINS0_14default_configENS1_20scan_config_selectorIjEEZZNS1_9scan_implILNS1_25lookback_scan_determinismE0ELb1ELb1ES3_PjS8_jN6hipcub16HIPCUB_304000_NS3SumEjEEDaPvRmT3_T4_T5_mT6_P12ihipStream_tbENKUlT_T0_E_clISt17integral_constantIbLb1EESP_EEDaSK_SL_EUlSK_E0_NS1_11comp_targetILNS1_3genE3ELNS1_11target_archE908ELNS1_3gpuE7ELNS1_3repE0EEENS1_30default_config_static_selectorELNS0_4arch9wavefront6targetE0EEEvT1_,@function
_ZN7rocprim17ROCPRIM_400000_NS6detail17trampoline_kernelINS0_14default_configENS1_20scan_config_selectorIjEEZZNS1_9scan_implILNS1_25lookback_scan_determinismE0ELb1ELb1ES3_PjS8_jN6hipcub16HIPCUB_304000_NS3SumEjEEDaPvRmT3_T4_T5_mT6_P12ihipStream_tbENKUlT_T0_E_clISt17integral_constantIbLb1EESP_EEDaSK_SL_EUlSK_E0_NS1_11comp_targetILNS1_3genE3ELNS1_11target_archE908ELNS1_3gpuE7ELNS1_3repE0EEENS1_30default_config_static_selectorELNS0_4arch9wavefront6targetE0EEEvT1_: ; @_ZN7rocprim17ROCPRIM_400000_NS6detail17trampoline_kernelINS0_14default_configENS1_20scan_config_selectorIjEEZZNS1_9scan_implILNS1_25lookback_scan_determinismE0ELb1ELb1ES3_PjS8_jN6hipcub16HIPCUB_304000_NS3SumEjEEDaPvRmT3_T4_T5_mT6_P12ihipStream_tbENKUlT_T0_E_clISt17integral_constantIbLb1EESP_EEDaSK_SL_EUlSK_E0_NS1_11comp_targetILNS1_3genE3ELNS1_11target_archE908ELNS1_3gpuE7ELNS1_3repE0EEENS1_30default_config_static_selectorELNS0_4arch9wavefront6targetE0EEEvT1_
; %bb.0:
	.section	.rodata,"a",@progbits
	.p2align	6, 0x0
	.amdhsa_kernel _ZN7rocprim17ROCPRIM_400000_NS6detail17trampoline_kernelINS0_14default_configENS1_20scan_config_selectorIjEEZZNS1_9scan_implILNS1_25lookback_scan_determinismE0ELb1ELb1ES3_PjS8_jN6hipcub16HIPCUB_304000_NS3SumEjEEDaPvRmT3_T4_T5_mT6_P12ihipStream_tbENKUlT_T0_E_clISt17integral_constantIbLb1EESP_EEDaSK_SL_EUlSK_E0_NS1_11comp_targetILNS1_3genE3ELNS1_11target_archE908ELNS1_3gpuE7ELNS1_3repE0EEENS1_30default_config_static_selectorELNS0_4arch9wavefront6targetE0EEEvT1_
		.amdhsa_group_segment_fixed_size 0
		.amdhsa_private_segment_fixed_size 0
		.amdhsa_kernarg_size 32
		.amdhsa_user_sgpr_count 2
		.amdhsa_user_sgpr_dispatch_ptr 0
		.amdhsa_user_sgpr_queue_ptr 0
		.amdhsa_user_sgpr_kernarg_segment_ptr 1
		.amdhsa_user_sgpr_dispatch_id 0
		.amdhsa_user_sgpr_kernarg_preload_length 0
		.amdhsa_user_sgpr_kernarg_preload_offset 0
		.amdhsa_user_sgpr_private_segment_size 0
		.amdhsa_wavefront_size32 1
		.amdhsa_uses_dynamic_stack 0
		.amdhsa_enable_private_segment 0
		.amdhsa_system_sgpr_workgroup_id_x 1
		.amdhsa_system_sgpr_workgroup_id_y 0
		.amdhsa_system_sgpr_workgroup_id_z 0
		.amdhsa_system_sgpr_workgroup_info 0
		.amdhsa_system_vgpr_workitem_id 0
		.amdhsa_next_free_vgpr 1
		.amdhsa_next_free_sgpr 1
		.amdhsa_named_barrier_count 0
		.amdhsa_reserve_vcc 0
		.amdhsa_float_round_mode_32 0
		.amdhsa_float_round_mode_16_64 0
		.amdhsa_float_denorm_mode_32 3
		.amdhsa_float_denorm_mode_16_64 3
		.amdhsa_fp16_overflow 0
		.amdhsa_memory_ordered 1
		.amdhsa_forward_progress 1
		.amdhsa_inst_pref_size 0
		.amdhsa_round_robin_scheduling 0
		.amdhsa_exception_fp_ieee_invalid_op 0
		.amdhsa_exception_fp_denorm_src 0
		.amdhsa_exception_fp_ieee_div_zero 0
		.amdhsa_exception_fp_ieee_overflow 0
		.amdhsa_exception_fp_ieee_underflow 0
		.amdhsa_exception_fp_ieee_inexact 0
		.amdhsa_exception_int_div_zero 0
	.end_amdhsa_kernel
	.section	.text._ZN7rocprim17ROCPRIM_400000_NS6detail17trampoline_kernelINS0_14default_configENS1_20scan_config_selectorIjEEZZNS1_9scan_implILNS1_25lookback_scan_determinismE0ELb1ELb1ES3_PjS8_jN6hipcub16HIPCUB_304000_NS3SumEjEEDaPvRmT3_T4_T5_mT6_P12ihipStream_tbENKUlT_T0_E_clISt17integral_constantIbLb1EESP_EEDaSK_SL_EUlSK_E0_NS1_11comp_targetILNS1_3genE3ELNS1_11target_archE908ELNS1_3gpuE7ELNS1_3repE0EEENS1_30default_config_static_selectorELNS0_4arch9wavefront6targetE0EEEvT1_,"axG",@progbits,_ZN7rocprim17ROCPRIM_400000_NS6detail17trampoline_kernelINS0_14default_configENS1_20scan_config_selectorIjEEZZNS1_9scan_implILNS1_25lookback_scan_determinismE0ELb1ELb1ES3_PjS8_jN6hipcub16HIPCUB_304000_NS3SumEjEEDaPvRmT3_T4_T5_mT6_P12ihipStream_tbENKUlT_T0_E_clISt17integral_constantIbLb1EESP_EEDaSK_SL_EUlSK_E0_NS1_11comp_targetILNS1_3genE3ELNS1_11target_archE908ELNS1_3gpuE7ELNS1_3repE0EEENS1_30default_config_static_selectorELNS0_4arch9wavefront6targetE0EEEvT1_,comdat
.Lfunc_end41:
	.size	_ZN7rocprim17ROCPRIM_400000_NS6detail17trampoline_kernelINS0_14default_configENS1_20scan_config_selectorIjEEZZNS1_9scan_implILNS1_25lookback_scan_determinismE0ELb1ELb1ES3_PjS8_jN6hipcub16HIPCUB_304000_NS3SumEjEEDaPvRmT3_T4_T5_mT6_P12ihipStream_tbENKUlT_T0_E_clISt17integral_constantIbLb1EESP_EEDaSK_SL_EUlSK_E0_NS1_11comp_targetILNS1_3genE3ELNS1_11target_archE908ELNS1_3gpuE7ELNS1_3repE0EEENS1_30default_config_static_selectorELNS0_4arch9wavefront6targetE0EEEvT1_, .Lfunc_end41-_ZN7rocprim17ROCPRIM_400000_NS6detail17trampoline_kernelINS0_14default_configENS1_20scan_config_selectorIjEEZZNS1_9scan_implILNS1_25lookback_scan_determinismE0ELb1ELb1ES3_PjS8_jN6hipcub16HIPCUB_304000_NS3SumEjEEDaPvRmT3_T4_T5_mT6_P12ihipStream_tbENKUlT_T0_E_clISt17integral_constantIbLb1EESP_EEDaSK_SL_EUlSK_E0_NS1_11comp_targetILNS1_3genE3ELNS1_11target_archE908ELNS1_3gpuE7ELNS1_3repE0EEENS1_30default_config_static_selectorELNS0_4arch9wavefront6targetE0EEEvT1_
                                        ; -- End function
	.set _ZN7rocprim17ROCPRIM_400000_NS6detail17trampoline_kernelINS0_14default_configENS1_20scan_config_selectorIjEEZZNS1_9scan_implILNS1_25lookback_scan_determinismE0ELb1ELb1ES3_PjS8_jN6hipcub16HIPCUB_304000_NS3SumEjEEDaPvRmT3_T4_T5_mT6_P12ihipStream_tbENKUlT_T0_E_clISt17integral_constantIbLb1EESP_EEDaSK_SL_EUlSK_E0_NS1_11comp_targetILNS1_3genE3ELNS1_11target_archE908ELNS1_3gpuE7ELNS1_3repE0EEENS1_30default_config_static_selectorELNS0_4arch9wavefront6targetE0EEEvT1_.num_vgpr, 0
	.set _ZN7rocprim17ROCPRIM_400000_NS6detail17trampoline_kernelINS0_14default_configENS1_20scan_config_selectorIjEEZZNS1_9scan_implILNS1_25lookback_scan_determinismE0ELb1ELb1ES3_PjS8_jN6hipcub16HIPCUB_304000_NS3SumEjEEDaPvRmT3_T4_T5_mT6_P12ihipStream_tbENKUlT_T0_E_clISt17integral_constantIbLb1EESP_EEDaSK_SL_EUlSK_E0_NS1_11comp_targetILNS1_3genE3ELNS1_11target_archE908ELNS1_3gpuE7ELNS1_3repE0EEENS1_30default_config_static_selectorELNS0_4arch9wavefront6targetE0EEEvT1_.num_agpr, 0
	.set _ZN7rocprim17ROCPRIM_400000_NS6detail17trampoline_kernelINS0_14default_configENS1_20scan_config_selectorIjEEZZNS1_9scan_implILNS1_25lookback_scan_determinismE0ELb1ELb1ES3_PjS8_jN6hipcub16HIPCUB_304000_NS3SumEjEEDaPvRmT3_T4_T5_mT6_P12ihipStream_tbENKUlT_T0_E_clISt17integral_constantIbLb1EESP_EEDaSK_SL_EUlSK_E0_NS1_11comp_targetILNS1_3genE3ELNS1_11target_archE908ELNS1_3gpuE7ELNS1_3repE0EEENS1_30default_config_static_selectorELNS0_4arch9wavefront6targetE0EEEvT1_.numbered_sgpr, 0
	.set _ZN7rocprim17ROCPRIM_400000_NS6detail17trampoline_kernelINS0_14default_configENS1_20scan_config_selectorIjEEZZNS1_9scan_implILNS1_25lookback_scan_determinismE0ELb1ELb1ES3_PjS8_jN6hipcub16HIPCUB_304000_NS3SumEjEEDaPvRmT3_T4_T5_mT6_P12ihipStream_tbENKUlT_T0_E_clISt17integral_constantIbLb1EESP_EEDaSK_SL_EUlSK_E0_NS1_11comp_targetILNS1_3genE3ELNS1_11target_archE908ELNS1_3gpuE7ELNS1_3repE0EEENS1_30default_config_static_selectorELNS0_4arch9wavefront6targetE0EEEvT1_.num_named_barrier, 0
	.set _ZN7rocprim17ROCPRIM_400000_NS6detail17trampoline_kernelINS0_14default_configENS1_20scan_config_selectorIjEEZZNS1_9scan_implILNS1_25lookback_scan_determinismE0ELb1ELb1ES3_PjS8_jN6hipcub16HIPCUB_304000_NS3SumEjEEDaPvRmT3_T4_T5_mT6_P12ihipStream_tbENKUlT_T0_E_clISt17integral_constantIbLb1EESP_EEDaSK_SL_EUlSK_E0_NS1_11comp_targetILNS1_3genE3ELNS1_11target_archE908ELNS1_3gpuE7ELNS1_3repE0EEENS1_30default_config_static_selectorELNS0_4arch9wavefront6targetE0EEEvT1_.private_seg_size, 0
	.set _ZN7rocprim17ROCPRIM_400000_NS6detail17trampoline_kernelINS0_14default_configENS1_20scan_config_selectorIjEEZZNS1_9scan_implILNS1_25lookback_scan_determinismE0ELb1ELb1ES3_PjS8_jN6hipcub16HIPCUB_304000_NS3SumEjEEDaPvRmT3_T4_T5_mT6_P12ihipStream_tbENKUlT_T0_E_clISt17integral_constantIbLb1EESP_EEDaSK_SL_EUlSK_E0_NS1_11comp_targetILNS1_3genE3ELNS1_11target_archE908ELNS1_3gpuE7ELNS1_3repE0EEENS1_30default_config_static_selectorELNS0_4arch9wavefront6targetE0EEEvT1_.uses_vcc, 0
	.set _ZN7rocprim17ROCPRIM_400000_NS6detail17trampoline_kernelINS0_14default_configENS1_20scan_config_selectorIjEEZZNS1_9scan_implILNS1_25lookback_scan_determinismE0ELb1ELb1ES3_PjS8_jN6hipcub16HIPCUB_304000_NS3SumEjEEDaPvRmT3_T4_T5_mT6_P12ihipStream_tbENKUlT_T0_E_clISt17integral_constantIbLb1EESP_EEDaSK_SL_EUlSK_E0_NS1_11comp_targetILNS1_3genE3ELNS1_11target_archE908ELNS1_3gpuE7ELNS1_3repE0EEENS1_30default_config_static_selectorELNS0_4arch9wavefront6targetE0EEEvT1_.uses_flat_scratch, 0
	.set _ZN7rocprim17ROCPRIM_400000_NS6detail17trampoline_kernelINS0_14default_configENS1_20scan_config_selectorIjEEZZNS1_9scan_implILNS1_25lookback_scan_determinismE0ELb1ELb1ES3_PjS8_jN6hipcub16HIPCUB_304000_NS3SumEjEEDaPvRmT3_T4_T5_mT6_P12ihipStream_tbENKUlT_T0_E_clISt17integral_constantIbLb1EESP_EEDaSK_SL_EUlSK_E0_NS1_11comp_targetILNS1_3genE3ELNS1_11target_archE908ELNS1_3gpuE7ELNS1_3repE0EEENS1_30default_config_static_selectorELNS0_4arch9wavefront6targetE0EEEvT1_.has_dyn_sized_stack, 0
	.set _ZN7rocprim17ROCPRIM_400000_NS6detail17trampoline_kernelINS0_14default_configENS1_20scan_config_selectorIjEEZZNS1_9scan_implILNS1_25lookback_scan_determinismE0ELb1ELb1ES3_PjS8_jN6hipcub16HIPCUB_304000_NS3SumEjEEDaPvRmT3_T4_T5_mT6_P12ihipStream_tbENKUlT_T0_E_clISt17integral_constantIbLb1EESP_EEDaSK_SL_EUlSK_E0_NS1_11comp_targetILNS1_3genE3ELNS1_11target_archE908ELNS1_3gpuE7ELNS1_3repE0EEENS1_30default_config_static_selectorELNS0_4arch9wavefront6targetE0EEEvT1_.has_recursion, 0
	.set _ZN7rocprim17ROCPRIM_400000_NS6detail17trampoline_kernelINS0_14default_configENS1_20scan_config_selectorIjEEZZNS1_9scan_implILNS1_25lookback_scan_determinismE0ELb1ELb1ES3_PjS8_jN6hipcub16HIPCUB_304000_NS3SumEjEEDaPvRmT3_T4_T5_mT6_P12ihipStream_tbENKUlT_T0_E_clISt17integral_constantIbLb1EESP_EEDaSK_SL_EUlSK_E0_NS1_11comp_targetILNS1_3genE3ELNS1_11target_archE908ELNS1_3gpuE7ELNS1_3repE0EEENS1_30default_config_static_selectorELNS0_4arch9wavefront6targetE0EEEvT1_.has_indirect_call, 0
	.section	.AMDGPU.csdata,"",@progbits
; Kernel info:
; codeLenInByte = 0
; TotalNumSgprs: 0
; NumVgprs: 0
; ScratchSize: 0
; MemoryBound: 0
; FloatMode: 240
; IeeeMode: 1
; LDSByteSize: 0 bytes/workgroup (compile time only)
; SGPRBlocks: 0
; VGPRBlocks: 0
; NumSGPRsForWavesPerEU: 1
; NumVGPRsForWavesPerEU: 1
; NamedBarCnt: 0
; Occupancy: 16
; WaveLimiterHint : 0
; COMPUTE_PGM_RSRC2:SCRATCH_EN: 0
; COMPUTE_PGM_RSRC2:USER_SGPR: 2
; COMPUTE_PGM_RSRC2:TRAP_HANDLER: 0
; COMPUTE_PGM_RSRC2:TGID_X_EN: 1
; COMPUTE_PGM_RSRC2:TGID_Y_EN: 0
; COMPUTE_PGM_RSRC2:TGID_Z_EN: 0
; COMPUTE_PGM_RSRC2:TIDIG_COMP_CNT: 0
	.section	.text._ZN7rocprim17ROCPRIM_400000_NS6detail17trampoline_kernelINS0_14default_configENS1_20scan_config_selectorIjEEZZNS1_9scan_implILNS1_25lookback_scan_determinismE0ELb1ELb1ES3_PjS8_jN6hipcub16HIPCUB_304000_NS3SumEjEEDaPvRmT3_T4_T5_mT6_P12ihipStream_tbENKUlT_T0_E_clISt17integral_constantIbLb1EESP_EEDaSK_SL_EUlSK_E0_NS1_11comp_targetILNS1_3genE2ELNS1_11target_archE906ELNS1_3gpuE6ELNS1_3repE0EEENS1_30default_config_static_selectorELNS0_4arch9wavefront6targetE0EEEvT1_,"axG",@progbits,_ZN7rocprim17ROCPRIM_400000_NS6detail17trampoline_kernelINS0_14default_configENS1_20scan_config_selectorIjEEZZNS1_9scan_implILNS1_25lookback_scan_determinismE0ELb1ELb1ES3_PjS8_jN6hipcub16HIPCUB_304000_NS3SumEjEEDaPvRmT3_T4_T5_mT6_P12ihipStream_tbENKUlT_T0_E_clISt17integral_constantIbLb1EESP_EEDaSK_SL_EUlSK_E0_NS1_11comp_targetILNS1_3genE2ELNS1_11target_archE906ELNS1_3gpuE6ELNS1_3repE0EEENS1_30default_config_static_selectorELNS0_4arch9wavefront6targetE0EEEvT1_,comdat
	.protected	_ZN7rocprim17ROCPRIM_400000_NS6detail17trampoline_kernelINS0_14default_configENS1_20scan_config_selectorIjEEZZNS1_9scan_implILNS1_25lookback_scan_determinismE0ELb1ELb1ES3_PjS8_jN6hipcub16HIPCUB_304000_NS3SumEjEEDaPvRmT3_T4_T5_mT6_P12ihipStream_tbENKUlT_T0_E_clISt17integral_constantIbLb1EESP_EEDaSK_SL_EUlSK_E0_NS1_11comp_targetILNS1_3genE2ELNS1_11target_archE906ELNS1_3gpuE6ELNS1_3repE0EEENS1_30default_config_static_selectorELNS0_4arch9wavefront6targetE0EEEvT1_ ; -- Begin function _ZN7rocprim17ROCPRIM_400000_NS6detail17trampoline_kernelINS0_14default_configENS1_20scan_config_selectorIjEEZZNS1_9scan_implILNS1_25lookback_scan_determinismE0ELb1ELb1ES3_PjS8_jN6hipcub16HIPCUB_304000_NS3SumEjEEDaPvRmT3_T4_T5_mT6_P12ihipStream_tbENKUlT_T0_E_clISt17integral_constantIbLb1EESP_EEDaSK_SL_EUlSK_E0_NS1_11comp_targetILNS1_3genE2ELNS1_11target_archE906ELNS1_3gpuE6ELNS1_3repE0EEENS1_30default_config_static_selectorELNS0_4arch9wavefront6targetE0EEEvT1_
	.globl	_ZN7rocprim17ROCPRIM_400000_NS6detail17trampoline_kernelINS0_14default_configENS1_20scan_config_selectorIjEEZZNS1_9scan_implILNS1_25lookback_scan_determinismE0ELb1ELb1ES3_PjS8_jN6hipcub16HIPCUB_304000_NS3SumEjEEDaPvRmT3_T4_T5_mT6_P12ihipStream_tbENKUlT_T0_E_clISt17integral_constantIbLb1EESP_EEDaSK_SL_EUlSK_E0_NS1_11comp_targetILNS1_3genE2ELNS1_11target_archE906ELNS1_3gpuE6ELNS1_3repE0EEENS1_30default_config_static_selectorELNS0_4arch9wavefront6targetE0EEEvT1_
	.p2align	8
	.type	_ZN7rocprim17ROCPRIM_400000_NS6detail17trampoline_kernelINS0_14default_configENS1_20scan_config_selectorIjEEZZNS1_9scan_implILNS1_25lookback_scan_determinismE0ELb1ELb1ES3_PjS8_jN6hipcub16HIPCUB_304000_NS3SumEjEEDaPvRmT3_T4_T5_mT6_P12ihipStream_tbENKUlT_T0_E_clISt17integral_constantIbLb1EESP_EEDaSK_SL_EUlSK_E0_NS1_11comp_targetILNS1_3genE2ELNS1_11target_archE906ELNS1_3gpuE6ELNS1_3repE0EEENS1_30default_config_static_selectorELNS0_4arch9wavefront6targetE0EEEvT1_,@function
_ZN7rocprim17ROCPRIM_400000_NS6detail17trampoline_kernelINS0_14default_configENS1_20scan_config_selectorIjEEZZNS1_9scan_implILNS1_25lookback_scan_determinismE0ELb1ELb1ES3_PjS8_jN6hipcub16HIPCUB_304000_NS3SumEjEEDaPvRmT3_T4_T5_mT6_P12ihipStream_tbENKUlT_T0_E_clISt17integral_constantIbLb1EESP_EEDaSK_SL_EUlSK_E0_NS1_11comp_targetILNS1_3genE2ELNS1_11target_archE906ELNS1_3gpuE6ELNS1_3repE0EEENS1_30default_config_static_selectorELNS0_4arch9wavefront6targetE0EEEvT1_: ; @_ZN7rocprim17ROCPRIM_400000_NS6detail17trampoline_kernelINS0_14default_configENS1_20scan_config_selectorIjEEZZNS1_9scan_implILNS1_25lookback_scan_determinismE0ELb1ELb1ES3_PjS8_jN6hipcub16HIPCUB_304000_NS3SumEjEEDaPvRmT3_T4_T5_mT6_P12ihipStream_tbENKUlT_T0_E_clISt17integral_constantIbLb1EESP_EEDaSK_SL_EUlSK_E0_NS1_11comp_targetILNS1_3genE2ELNS1_11target_archE906ELNS1_3gpuE6ELNS1_3repE0EEENS1_30default_config_static_selectorELNS0_4arch9wavefront6targetE0EEEvT1_
; %bb.0:
	.section	.rodata,"a",@progbits
	.p2align	6, 0x0
	.amdhsa_kernel _ZN7rocprim17ROCPRIM_400000_NS6detail17trampoline_kernelINS0_14default_configENS1_20scan_config_selectorIjEEZZNS1_9scan_implILNS1_25lookback_scan_determinismE0ELb1ELb1ES3_PjS8_jN6hipcub16HIPCUB_304000_NS3SumEjEEDaPvRmT3_T4_T5_mT6_P12ihipStream_tbENKUlT_T0_E_clISt17integral_constantIbLb1EESP_EEDaSK_SL_EUlSK_E0_NS1_11comp_targetILNS1_3genE2ELNS1_11target_archE906ELNS1_3gpuE6ELNS1_3repE0EEENS1_30default_config_static_selectorELNS0_4arch9wavefront6targetE0EEEvT1_
		.amdhsa_group_segment_fixed_size 0
		.amdhsa_private_segment_fixed_size 0
		.amdhsa_kernarg_size 32
		.amdhsa_user_sgpr_count 2
		.amdhsa_user_sgpr_dispatch_ptr 0
		.amdhsa_user_sgpr_queue_ptr 0
		.amdhsa_user_sgpr_kernarg_segment_ptr 1
		.amdhsa_user_sgpr_dispatch_id 0
		.amdhsa_user_sgpr_kernarg_preload_length 0
		.amdhsa_user_sgpr_kernarg_preload_offset 0
		.amdhsa_user_sgpr_private_segment_size 0
		.amdhsa_wavefront_size32 1
		.amdhsa_uses_dynamic_stack 0
		.amdhsa_enable_private_segment 0
		.amdhsa_system_sgpr_workgroup_id_x 1
		.amdhsa_system_sgpr_workgroup_id_y 0
		.amdhsa_system_sgpr_workgroup_id_z 0
		.amdhsa_system_sgpr_workgroup_info 0
		.amdhsa_system_vgpr_workitem_id 0
		.amdhsa_next_free_vgpr 1
		.amdhsa_next_free_sgpr 1
		.amdhsa_named_barrier_count 0
		.amdhsa_reserve_vcc 0
		.amdhsa_float_round_mode_32 0
		.amdhsa_float_round_mode_16_64 0
		.amdhsa_float_denorm_mode_32 3
		.amdhsa_float_denorm_mode_16_64 3
		.amdhsa_fp16_overflow 0
		.amdhsa_memory_ordered 1
		.amdhsa_forward_progress 1
		.amdhsa_inst_pref_size 0
		.amdhsa_round_robin_scheduling 0
		.amdhsa_exception_fp_ieee_invalid_op 0
		.amdhsa_exception_fp_denorm_src 0
		.amdhsa_exception_fp_ieee_div_zero 0
		.amdhsa_exception_fp_ieee_overflow 0
		.amdhsa_exception_fp_ieee_underflow 0
		.amdhsa_exception_fp_ieee_inexact 0
		.amdhsa_exception_int_div_zero 0
	.end_amdhsa_kernel
	.section	.text._ZN7rocprim17ROCPRIM_400000_NS6detail17trampoline_kernelINS0_14default_configENS1_20scan_config_selectorIjEEZZNS1_9scan_implILNS1_25lookback_scan_determinismE0ELb1ELb1ES3_PjS8_jN6hipcub16HIPCUB_304000_NS3SumEjEEDaPvRmT3_T4_T5_mT6_P12ihipStream_tbENKUlT_T0_E_clISt17integral_constantIbLb1EESP_EEDaSK_SL_EUlSK_E0_NS1_11comp_targetILNS1_3genE2ELNS1_11target_archE906ELNS1_3gpuE6ELNS1_3repE0EEENS1_30default_config_static_selectorELNS0_4arch9wavefront6targetE0EEEvT1_,"axG",@progbits,_ZN7rocprim17ROCPRIM_400000_NS6detail17trampoline_kernelINS0_14default_configENS1_20scan_config_selectorIjEEZZNS1_9scan_implILNS1_25lookback_scan_determinismE0ELb1ELb1ES3_PjS8_jN6hipcub16HIPCUB_304000_NS3SumEjEEDaPvRmT3_T4_T5_mT6_P12ihipStream_tbENKUlT_T0_E_clISt17integral_constantIbLb1EESP_EEDaSK_SL_EUlSK_E0_NS1_11comp_targetILNS1_3genE2ELNS1_11target_archE906ELNS1_3gpuE6ELNS1_3repE0EEENS1_30default_config_static_selectorELNS0_4arch9wavefront6targetE0EEEvT1_,comdat
.Lfunc_end42:
	.size	_ZN7rocprim17ROCPRIM_400000_NS6detail17trampoline_kernelINS0_14default_configENS1_20scan_config_selectorIjEEZZNS1_9scan_implILNS1_25lookback_scan_determinismE0ELb1ELb1ES3_PjS8_jN6hipcub16HIPCUB_304000_NS3SumEjEEDaPvRmT3_T4_T5_mT6_P12ihipStream_tbENKUlT_T0_E_clISt17integral_constantIbLb1EESP_EEDaSK_SL_EUlSK_E0_NS1_11comp_targetILNS1_3genE2ELNS1_11target_archE906ELNS1_3gpuE6ELNS1_3repE0EEENS1_30default_config_static_selectorELNS0_4arch9wavefront6targetE0EEEvT1_, .Lfunc_end42-_ZN7rocprim17ROCPRIM_400000_NS6detail17trampoline_kernelINS0_14default_configENS1_20scan_config_selectorIjEEZZNS1_9scan_implILNS1_25lookback_scan_determinismE0ELb1ELb1ES3_PjS8_jN6hipcub16HIPCUB_304000_NS3SumEjEEDaPvRmT3_T4_T5_mT6_P12ihipStream_tbENKUlT_T0_E_clISt17integral_constantIbLb1EESP_EEDaSK_SL_EUlSK_E0_NS1_11comp_targetILNS1_3genE2ELNS1_11target_archE906ELNS1_3gpuE6ELNS1_3repE0EEENS1_30default_config_static_selectorELNS0_4arch9wavefront6targetE0EEEvT1_
                                        ; -- End function
	.set _ZN7rocprim17ROCPRIM_400000_NS6detail17trampoline_kernelINS0_14default_configENS1_20scan_config_selectorIjEEZZNS1_9scan_implILNS1_25lookback_scan_determinismE0ELb1ELb1ES3_PjS8_jN6hipcub16HIPCUB_304000_NS3SumEjEEDaPvRmT3_T4_T5_mT6_P12ihipStream_tbENKUlT_T0_E_clISt17integral_constantIbLb1EESP_EEDaSK_SL_EUlSK_E0_NS1_11comp_targetILNS1_3genE2ELNS1_11target_archE906ELNS1_3gpuE6ELNS1_3repE0EEENS1_30default_config_static_selectorELNS0_4arch9wavefront6targetE0EEEvT1_.num_vgpr, 0
	.set _ZN7rocprim17ROCPRIM_400000_NS6detail17trampoline_kernelINS0_14default_configENS1_20scan_config_selectorIjEEZZNS1_9scan_implILNS1_25lookback_scan_determinismE0ELb1ELb1ES3_PjS8_jN6hipcub16HIPCUB_304000_NS3SumEjEEDaPvRmT3_T4_T5_mT6_P12ihipStream_tbENKUlT_T0_E_clISt17integral_constantIbLb1EESP_EEDaSK_SL_EUlSK_E0_NS1_11comp_targetILNS1_3genE2ELNS1_11target_archE906ELNS1_3gpuE6ELNS1_3repE0EEENS1_30default_config_static_selectorELNS0_4arch9wavefront6targetE0EEEvT1_.num_agpr, 0
	.set _ZN7rocprim17ROCPRIM_400000_NS6detail17trampoline_kernelINS0_14default_configENS1_20scan_config_selectorIjEEZZNS1_9scan_implILNS1_25lookback_scan_determinismE0ELb1ELb1ES3_PjS8_jN6hipcub16HIPCUB_304000_NS3SumEjEEDaPvRmT3_T4_T5_mT6_P12ihipStream_tbENKUlT_T0_E_clISt17integral_constantIbLb1EESP_EEDaSK_SL_EUlSK_E0_NS1_11comp_targetILNS1_3genE2ELNS1_11target_archE906ELNS1_3gpuE6ELNS1_3repE0EEENS1_30default_config_static_selectorELNS0_4arch9wavefront6targetE0EEEvT1_.numbered_sgpr, 0
	.set _ZN7rocprim17ROCPRIM_400000_NS6detail17trampoline_kernelINS0_14default_configENS1_20scan_config_selectorIjEEZZNS1_9scan_implILNS1_25lookback_scan_determinismE0ELb1ELb1ES3_PjS8_jN6hipcub16HIPCUB_304000_NS3SumEjEEDaPvRmT3_T4_T5_mT6_P12ihipStream_tbENKUlT_T0_E_clISt17integral_constantIbLb1EESP_EEDaSK_SL_EUlSK_E0_NS1_11comp_targetILNS1_3genE2ELNS1_11target_archE906ELNS1_3gpuE6ELNS1_3repE0EEENS1_30default_config_static_selectorELNS0_4arch9wavefront6targetE0EEEvT1_.num_named_barrier, 0
	.set _ZN7rocprim17ROCPRIM_400000_NS6detail17trampoline_kernelINS0_14default_configENS1_20scan_config_selectorIjEEZZNS1_9scan_implILNS1_25lookback_scan_determinismE0ELb1ELb1ES3_PjS8_jN6hipcub16HIPCUB_304000_NS3SumEjEEDaPvRmT3_T4_T5_mT6_P12ihipStream_tbENKUlT_T0_E_clISt17integral_constantIbLb1EESP_EEDaSK_SL_EUlSK_E0_NS1_11comp_targetILNS1_3genE2ELNS1_11target_archE906ELNS1_3gpuE6ELNS1_3repE0EEENS1_30default_config_static_selectorELNS0_4arch9wavefront6targetE0EEEvT1_.private_seg_size, 0
	.set _ZN7rocprim17ROCPRIM_400000_NS6detail17trampoline_kernelINS0_14default_configENS1_20scan_config_selectorIjEEZZNS1_9scan_implILNS1_25lookback_scan_determinismE0ELb1ELb1ES3_PjS8_jN6hipcub16HIPCUB_304000_NS3SumEjEEDaPvRmT3_T4_T5_mT6_P12ihipStream_tbENKUlT_T0_E_clISt17integral_constantIbLb1EESP_EEDaSK_SL_EUlSK_E0_NS1_11comp_targetILNS1_3genE2ELNS1_11target_archE906ELNS1_3gpuE6ELNS1_3repE0EEENS1_30default_config_static_selectorELNS0_4arch9wavefront6targetE0EEEvT1_.uses_vcc, 0
	.set _ZN7rocprim17ROCPRIM_400000_NS6detail17trampoline_kernelINS0_14default_configENS1_20scan_config_selectorIjEEZZNS1_9scan_implILNS1_25lookback_scan_determinismE0ELb1ELb1ES3_PjS8_jN6hipcub16HIPCUB_304000_NS3SumEjEEDaPvRmT3_T4_T5_mT6_P12ihipStream_tbENKUlT_T0_E_clISt17integral_constantIbLb1EESP_EEDaSK_SL_EUlSK_E0_NS1_11comp_targetILNS1_3genE2ELNS1_11target_archE906ELNS1_3gpuE6ELNS1_3repE0EEENS1_30default_config_static_selectorELNS0_4arch9wavefront6targetE0EEEvT1_.uses_flat_scratch, 0
	.set _ZN7rocprim17ROCPRIM_400000_NS6detail17trampoline_kernelINS0_14default_configENS1_20scan_config_selectorIjEEZZNS1_9scan_implILNS1_25lookback_scan_determinismE0ELb1ELb1ES3_PjS8_jN6hipcub16HIPCUB_304000_NS3SumEjEEDaPvRmT3_T4_T5_mT6_P12ihipStream_tbENKUlT_T0_E_clISt17integral_constantIbLb1EESP_EEDaSK_SL_EUlSK_E0_NS1_11comp_targetILNS1_3genE2ELNS1_11target_archE906ELNS1_3gpuE6ELNS1_3repE0EEENS1_30default_config_static_selectorELNS0_4arch9wavefront6targetE0EEEvT1_.has_dyn_sized_stack, 0
	.set _ZN7rocprim17ROCPRIM_400000_NS6detail17trampoline_kernelINS0_14default_configENS1_20scan_config_selectorIjEEZZNS1_9scan_implILNS1_25lookback_scan_determinismE0ELb1ELb1ES3_PjS8_jN6hipcub16HIPCUB_304000_NS3SumEjEEDaPvRmT3_T4_T5_mT6_P12ihipStream_tbENKUlT_T0_E_clISt17integral_constantIbLb1EESP_EEDaSK_SL_EUlSK_E0_NS1_11comp_targetILNS1_3genE2ELNS1_11target_archE906ELNS1_3gpuE6ELNS1_3repE0EEENS1_30default_config_static_selectorELNS0_4arch9wavefront6targetE0EEEvT1_.has_recursion, 0
	.set _ZN7rocprim17ROCPRIM_400000_NS6detail17trampoline_kernelINS0_14default_configENS1_20scan_config_selectorIjEEZZNS1_9scan_implILNS1_25lookback_scan_determinismE0ELb1ELb1ES3_PjS8_jN6hipcub16HIPCUB_304000_NS3SumEjEEDaPvRmT3_T4_T5_mT6_P12ihipStream_tbENKUlT_T0_E_clISt17integral_constantIbLb1EESP_EEDaSK_SL_EUlSK_E0_NS1_11comp_targetILNS1_3genE2ELNS1_11target_archE906ELNS1_3gpuE6ELNS1_3repE0EEENS1_30default_config_static_selectorELNS0_4arch9wavefront6targetE0EEEvT1_.has_indirect_call, 0
	.section	.AMDGPU.csdata,"",@progbits
; Kernel info:
; codeLenInByte = 0
; TotalNumSgprs: 0
; NumVgprs: 0
; ScratchSize: 0
; MemoryBound: 0
; FloatMode: 240
; IeeeMode: 1
; LDSByteSize: 0 bytes/workgroup (compile time only)
; SGPRBlocks: 0
; VGPRBlocks: 0
; NumSGPRsForWavesPerEU: 1
; NumVGPRsForWavesPerEU: 1
; NamedBarCnt: 0
; Occupancy: 16
; WaveLimiterHint : 0
; COMPUTE_PGM_RSRC2:SCRATCH_EN: 0
; COMPUTE_PGM_RSRC2:USER_SGPR: 2
; COMPUTE_PGM_RSRC2:TRAP_HANDLER: 0
; COMPUTE_PGM_RSRC2:TGID_X_EN: 1
; COMPUTE_PGM_RSRC2:TGID_Y_EN: 0
; COMPUTE_PGM_RSRC2:TGID_Z_EN: 0
; COMPUTE_PGM_RSRC2:TIDIG_COMP_CNT: 0
	.section	.text._ZN7rocprim17ROCPRIM_400000_NS6detail17trampoline_kernelINS0_14default_configENS1_20scan_config_selectorIjEEZZNS1_9scan_implILNS1_25lookback_scan_determinismE0ELb1ELb1ES3_PjS8_jN6hipcub16HIPCUB_304000_NS3SumEjEEDaPvRmT3_T4_T5_mT6_P12ihipStream_tbENKUlT_T0_E_clISt17integral_constantIbLb1EESP_EEDaSK_SL_EUlSK_E0_NS1_11comp_targetILNS1_3genE10ELNS1_11target_archE1201ELNS1_3gpuE5ELNS1_3repE0EEENS1_30default_config_static_selectorELNS0_4arch9wavefront6targetE0EEEvT1_,"axG",@progbits,_ZN7rocprim17ROCPRIM_400000_NS6detail17trampoline_kernelINS0_14default_configENS1_20scan_config_selectorIjEEZZNS1_9scan_implILNS1_25lookback_scan_determinismE0ELb1ELb1ES3_PjS8_jN6hipcub16HIPCUB_304000_NS3SumEjEEDaPvRmT3_T4_T5_mT6_P12ihipStream_tbENKUlT_T0_E_clISt17integral_constantIbLb1EESP_EEDaSK_SL_EUlSK_E0_NS1_11comp_targetILNS1_3genE10ELNS1_11target_archE1201ELNS1_3gpuE5ELNS1_3repE0EEENS1_30default_config_static_selectorELNS0_4arch9wavefront6targetE0EEEvT1_,comdat
	.protected	_ZN7rocprim17ROCPRIM_400000_NS6detail17trampoline_kernelINS0_14default_configENS1_20scan_config_selectorIjEEZZNS1_9scan_implILNS1_25lookback_scan_determinismE0ELb1ELb1ES3_PjS8_jN6hipcub16HIPCUB_304000_NS3SumEjEEDaPvRmT3_T4_T5_mT6_P12ihipStream_tbENKUlT_T0_E_clISt17integral_constantIbLb1EESP_EEDaSK_SL_EUlSK_E0_NS1_11comp_targetILNS1_3genE10ELNS1_11target_archE1201ELNS1_3gpuE5ELNS1_3repE0EEENS1_30default_config_static_selectorELNS0_4arch9wavefront6targetE0EEEvT1_ ; -- Begin function _ZN7rocprim17ROCPRIM_400000_NS6detail17trampoline_kernelINS0_14default_configENS1_20scan_config_selectorIjEEZZNS1_9scan_implILNS1_25lookback_scan_determinismE0ELb1ELb1ES3_PjS8_jN6hipcub16HIPCUB_304000_NS3SumEjEEDaPvRmT3_T4_T5_mT6_P12ihipStream_tbENKUlT_T0_E_clISt17integral_constantIbLb1EESP_EEDaSK_SL_EUlSK_E0_NS1_11comp_targetILNS1_3genE10ELNS1_11target_archE1201ELNS1_3gpuE5ELNS1_3repE0EEENS1_30default_config_static_selectorELNS0_4arch9wavefront6targetE0EEEvT1_
	.globl	_ZN7rocprim17ROCPRIM_400000_NS6detail17trampoline_kernelINS0_14default_configENS1_20scan_config_selectorIjEEZZNS1_9scan_implILNS1_25lookback_scan_determinismE0ELb1ELb1ES3_PjS8_jN6hipcub16HIPCUB_304000_NS3SumEjEEDaPvRmT3_T4_T5_mT6_P12ihipStream_tbENKUlT_T0_E_clISt17integral_constantIbLb1EESP_EEDaSK_SL_EUlSK_E0_NS1_11comp_targetILNS1_3genE10ELNS1_11target_archE1201ELNS1_3gpuE5ELNS1_3repE0EEENS1_30default_config_static_selectorELNS0_4arch9wavefront6targetE0EEEvT1_
	.p2align	8
	.type	_ZN7rocprim17ROCPRIM_400000_NS6detail17trampoline_kernelINS0_14default_configENS1_20scan_config_selectorIjEEZZNS1_9scan_implILNS1_25lookback_scan_determinismE0ELb1ELb1ES3_PjS8_jN6hipcub16HIPCUB_304000_NS3SumEjEEDaPvRmT3_T4_T5_mT6_P12ihipStream_tbENKUlT_T0_E_clISt17integral_constantIbLb1EESP_EEDaSK_SL_EUlSK_E0_NS1_11comp_targetILNS1_3genE10ELNS1_11target_archE1201ELNS1_3gpuE5ELNS1_3repE0EEENS1_30default_config_static_selectorELNS0_4arch9wavefront6targetE0EEEvT1_,@function
_ZN7rocprim17ROCPRIM_400000_NS6detail17trampoline_kernelINS0_14default_configENS1_20scan_config_selectorIjEEZZNS1_9scan_implILNS1_25lookback_scan_determinismE0ELb1ELb1ES3_PjS8_jN6hipcub16HIPCUB_304000_NS3SumEjEEDaPvRmT3_T4_T5_mT6_P12ihipStream_tbENKUlT_T0_E_clISt17integral_constantIbLb1EESP_EEDaSK_SL_EUlSK_E0_NS1_11comp_targetILNS1_3genE10ELNS1_11target_archE1201ELNS1_3gpuE5ELNS1_3repE0EEENS1_30default_config_static_selectorELNS0_4arch9wavefront6targetE0EEEvT1_: ; @_ZN7rocprim17ROCPRIM_400000_NS6detail17trampoline_kernelINS0_14default_configENS1_20scan_config_selectorIjEEZZNS1_9scan_implILNS1_25lookback_scan_determinismE0ELb1ELb1ES3_PjS8_jN6hipcub16HIPCUB_304000_NS3SumEjEEDaPvRmT3_T4_T5_mT6_P12ihipStream_tbENKUlT_T0_E_clISt17integral_constantIbLb1EESP_EEDaSK_SL_EUlSK_E0_NS1_11comp_targetILNS1_3genE10ELNS1_11target_archE1201ELNS1_3gpuE5ELNS1_3repE0EEENS1_30default_config_static_selectorELNS0_4arch9wavefront6targetE0EEEvT1_
; %bb.0:
	.section	.rodata,"a",@progbits
	.p2align	6, 0x0
	.amdhsa_kernel _ZN7rocprim17ROCPRIM_400000_NS6detail17trampoline_kernelINS0_14default_configENS1_20scan_config_selectorIjEEZZNS1_9scan_implILNS1_25lookback_scan_determinismE0ELb1ELb1ES3_PjS8_jN6hipcub16HIPCUB_304000_NS3SumEjEEDaPvRmT3_T4_T5_mT6_P12ihipStream_tbENKUlT_T0_E_clISt17integral_constantIbLb1EESP_EEDaSK_SL_EUlSK_E0_NS1_11comp_targetILNS1_3genE10ELNS1_11target_archE1201ELNS1_3gpuE5ELNS1_3repE0EEENS1_30default_config_static_selectorELNS0_4arch9wavefront6targetE0EEEvT1_
		.amdhsa_group_segment_fixed_size 0
		.amdhsa_private_segment_fixed_size 0
		.amdhsa_kernarg_size 32
		.amdhsa_user_sgpr_count 2
		.amdhsa_user_sgpr_dispatch_ptr 0
		.amdhsa_user_sgpr_queue_ptr 0
		.amdhsa_user_sgpr_kernarg_segment_ptr 1
		.amdhsa_user_sgpr_dispatch_id 0
		.amdhsa_user_sgpr_kernarg_preload_length 0
		.amdhsa_user_sgpr_kernarg_preload_offset 0
		.amdhsa_user_sgpr_private_segment_size 0
		.amdhsa_wavefront_size32 1
		.amdhsa_uses_dynamic_stack 0
		.amdhsa_enable_private_segment 0
		.amdhsa_system_sgpr_workgroup_id_x 1
		.amdhsa_system_sgpr_workgroup_id_y 0
		.amdhsa_system_sgpr_workgroup_id_z 0
		.amdhsa_system_sgpr_workgroup_info 0
		.amdhsa_system_vgpr_workitem_id 0
		.amdhsa_next_free_vgpr 1
		.amdhsa_next_free_sgpr 1
		.amdhsa_named_barrier_count 0
		.amdhsa_reserve_vcc 0
		.amdhsa_float_round_mode_32 0
		.amdhsa_float_round_mode_16_64 0
		.amdhsa_float_denorm_mode_32 3
		.amdhsa_float_denorm_mode_16_64 3
		.amdhsa_fp16_overflow 0
		.amdhsa_memory_ordered 1
		.amdhsa_forward_progress 1
		.amdhsa_inst_pref_size 0
		.amdhsa_round_robin_scheduling 0
		.amdhsa_exception_fp_ieee_invalid_op 0
		.amdhsa_exception_fp_denorm_src 0
		.amdhsa_exception_fp_ieee_div_zero 0
		.amdhsa_exception_fp_ieee_overflow 0
		.amdhsa_exception_fp_ieee_underflow 0
		.amdhsa_exception_fp_ieee_inexact 0
		.amdhsa_exception_int_div_zero 0
	.end_amdhsa_kernel
	.section	.text._ZN7rocprim17ROCPRIM_400000_NS6detail17trampoline_kernelINS0_14default_configENS1_20scan_config_selectorIjEEZZNS1_9scan_implILNS1_25lookback_scan_determinismE0ELb1ELb1ES3_PjS8_jN6hipcub16HIPCUB_304000_NS3SumEjEEDaPvRmT3_T4_T5_mT6_P12ihipStream_tbENKUlT_T0_E_clISt17integral_constantIbLb1EESP_EEDaSK_SL_EUlSK_E0_NS1_11comp_targetILNS1_3genE10ELNS1_11target_archE1201ELNS1_3gpuE5ELNS1_3repE0EEENS1_30default_config_static_selectorELNS0_4arch9wavefront6targetE0EEEvT1_,"axG",@progbits,_ZN7rocprim17ROCPRIM_400000_NS6detail17trampoline_kernelINS0_14default_configENS1_20scan_config_selectorIjEEZZNS1_9scan_implILNS1_25lookback_scan_determinismE0ELb1ELb1ES3_PjS8_jN6hipcub16HIPCUB_304000_NS3SumEjEEDaPvRmT3_T4_T5_mT6_P12ihipStream_tbENKUlT_T0_E_clISt17integral_constantIbLb1EESP_EEDaSK_SL_EUlSK_E0_NS1_11comp_targetILNS1_3genE10ELNS1_11target_archE1201ELNS1_3gpuE5ELNS1_3repE0EEENS1_30default_config_static_selectorELNS0_4arch9wavefront6targetE0EEEvT1_,comdat
.Lfunc_end43:
	.size	_ZN7rocprim17ROCPRIM_400000_NS6detail17trampoline_kernelINS0_14default_configENS1_20scan_config_selectorIjEEZZNS1_9scan_implILNS1_25lookback_scan_determinismE0ELb1ELb1ES3_PjS8_jN6hipcub16HIPCUB_304000_NS3SumEjEEDaPvRmT3_T4_T5_mT6_P12ihipStream_tbENKUlT_T0_E_clISt17integral_constantIbLb1EESP_EEDaSK_SL_EUlSK_E0_NS1_11comp_targetILNS1_3genE10ELNS1_11target_archE1201ELNS1_3gpuE5ELNS1_3repE0EEENS1_30default_config_static_selectorELNS0_4arch9wavefront6targetE0EEEvT1_, .Lfunc_end43-_ZN7rocprim17ROCPRIM_400000_NS6detail17trampoline_kernelINS0_14default_configENS1_20scan_config_selectorIjEEZZNS1_9scan_implILNS1_25lookback_scan_determinismE0ELb1ELb1ES3_PjS8_jN6hipcub16HIPCUB_304000_NS3SumEjEEDaPvRmT3_T4_T5_mT6_P12ihipStream_tbENKUlT_T0_E_clISt17integral_constantIbLb1EESP_EEDaSK_SL_EUlSK_E0_NS1_11comp_targetILNS1_3genE10ELNS1_11target_archE1201ELNS1_3gpuE5ELNS1_3repE0EEENS1_30default_config_static_selectorELNS0_4arch9wavefront6targetE0EEEvT1_
                                        ; -- End function
	.set _ZN7rocprim17ROCPRIM_400000_NS6detail17trampoline_kernelINS0_14default_configENS1_20scan_config_selectorIjEEZZNS1_9scan_implILNS1_25lookback_scan_determinismE0ELb1ELb1ES3_PjS8_jN6hipcub16HIPCUB_304000_NS3SumEjEEDaPvRmT3_T4_T5_mT6_P12ihipStream_tbENKUlT_T0_E_clISt17integral_constantIbLb1EESP_EEDaSK_SL_EUlSK_E0_NS1_11comp_targetILNS1_3genE10ELNS1_11target_archE1201ELNS1_3gpuE5ELNS1_3repE0EEENS1_30default_config_static_selectorELNS0_4arch9wavefront6targetE0EEEvT1_.num_vgpr, 0
	.set _ZN7rocprim17ROCPRIM_400000_NS6detail17trampoline_kernelINS0_14default_configENS1_20scan_config_selectorIjEEZZNS1_9scan_implILNS1_25lookback_scan_determinismE0ELb1ELb1ES3_PjS8_jN6hipcub16HIPCUB_304000_NS3SumEjEEDaPvRmT3_T4_T5_mT6_P12ihipStream_tbENKUlT_T0_E_clISt17integral_constantIbLb1EESP_EEDaSK_SL_EUlSK_E0_NS1_11comp_targetILNS1_3genE10ELNS1_11target_archE1201ELNS1_3gpuE5ELNS1_3repE0EEENS1_30default_config_static_selectorELNS0_4arch9wavefront6targetE0EEEvT1_.num_agpr, 0
	.set _ZN7rocprim17ROCPRIM_400000_NS6detail17trampoline_kernelINS0_14default_configENS1_20scan_config_selectorIjEEZZNS1_9scan_implILNS1_25lookback_scan_determinismE0ELb1ELb1ES3_PjS8_jN6hipcub16HIPCUB_304000_NS3SumEjEEDaPvRmT3_T4_T5_mT6_P12ihipStream_tbENKUlT_T0_E_clISt17integral_constantIbLb1EESP_EEDaSK_SL_EUlSK_E0_NS1_11comp_targetILNS1_3genE10ELNS1_11target_archE1201ELNS1_3gpuE5ELNS1_3repE0EEENS1_30default_config_static_selectorELNS0_4arch9wavefront6targetE0EEEvT1_.numbered_sgpr, 0
	.set _ZN7rocprim17ROCPRIM_400000_NS6detail17trampoline_kernelINS0_14default_configENS1_20scan_config_selectorIjEEZZNS1_9scan_implILNS1_25lookback_scan_determinismE0ELb1ELb1ES3_PjS8_jN6hipcub16HIPCUB_304000_NS3SumEjEEDaPvRmT3_T4_T5_mT6_P12ihipStream_tbENKUlT_T0_E_clISt17integral_constantIbLb1EESP_EEDaSK_SL_EUlSK_E0_NS1_11comp_targetILNS1_3genE10ELNS1_11target_archE1201ELNS1_3gpuE5ELNS1_3repE0EEENS1_30default_config_static_selectorELNS0_4arch9wavefront6targetE0EEEvT1_.num_named_barrier, 0
	.set _ZN7rocprim17ROCPRIM_400000_NS6detail17trampoline_kernelINS0_14default_configENS1_20scan_config_selectorIjEEZZNS1_9scan_implILNS1_25lookback_scan_determinismE0ELb1ELb1ES3_PjS8_jN6hipcub16HIPCUB_304000_NS3SumEjEEDaPvRmT3_T4_T5_mT6_P12ihipStream_tbENKUlT_T0_E_clISt17integral_constantIbLb1EESP_EEDaSK_SL_EUlSK_E0_NS1_11comp_targetILNS1_3genE10ELNS1_11target_archE1201ELNS1_3gpuE5ELNS1_3repE0EEENS1_30default_config_static_selectorELNS0_4arch9wavefront6targetE0EEEvT1_.private_seg_size, 0
	.set _ZN7rocprim17ROCPRIM_400000_NS6detail17trampoline_kernelINS0_14default_configENS1_20scan_config_selectorIjEEZZNS1_9scan_implILNS1_25lookback_scan_determinismE0ELb1ELb1ES3_PjS8_jN6hipcub16HIPCUB_304000_NS3SumEjEEDaPvRmT3_T4_T5_mT6_P12ihipStream_tbENKUlT_T0_E_clISt17integral_constantIbLb1EESP_EEDaSK_SL_EUlSK_E0_NS1_11comp_targetILNS1_3genE10ELNS1_11target_archE1201ELNS1_3gpuE5ELNS1_3repE0EEENS1_30default_config_static_selectorELNS0_4arch9wavefront6targetE0EEEvT1_.uses_vcc, 0
	.set _ZN7rocprim17ROCPRIM_400000_NS6detail17trampoline_kernelINS0_14default_configENS1_20scan_config_selectorIjEEZZNS1_9scan_implILNS1_25lookback_scan_determinismE0ELb1ELb1ES3_PjS8_jN6hipcub16HIPCUB_304000_NS3SumEjEEDaPvRmT3_T4_T5_mT6_P12ihipStream_tbENKUlT_T0_E_clISt17integral_constantIbLb1EESP_EEDaSK_SL_EUlSK_E0_NS1_11comp_targetILNS1_3genE10ELNS1_11target_archE1201ELNS1_3gpuE5ELNS1_3repE0EEENS1_30default_config_static_selectorELNS0_4arch9wavefront6targetE0EEEvT1_.uses_flat_scratch, 0
	.set _ZN7rocprim17ROCPRIM_400000_NS6detail17trampoline_kernelINS0_14default_configENS1_20scan_config_selectorIjEEZZNS1_9scan_implILNS1_25lookback_scan_determinismE0ELb1ELb1ES3_PjS8_jN6hipcub16HIPCUB_304000_NS3SumEjEEDaPvRmT3_T4_T5_mT6_P12ihipStream_tbENKUlT_T0_E_clISt17integral_constantIbLb1EESP_EEDaSK_SL_EUlSK_E0_NS1_11comp_targetILNS1_3genE10ELNS1_11target_archE1201ELNS1_3gpuE5ELNS1_3repE0EEENS1_30default_config_static_selectorELNS0_4arch9wavefront6targetE0EEEvT1_.has_dyn_sized_stack, 0
	.set _ZN7rocprim17ROCPRIM_400000_NS6detail17trampoline_kernelINS0_14default_configENS1_20scan_config_selectorIjEEZZNS1_9scan_implILNS1_25lookback_scan_determinismE0ELb1ELb1ES3_PjS8_jN6hipcub16HIPCUB_304000_NS3SumEjEEDaPvRmT3_T4_T5_mT6_P12ihipStream_tbENKUlT_T0_E_clISt17integral_constantIbLb1EESP_EEDaSK_SL_EUlSK_E0_NS1_11comp_targetILNS1_3genE10ELNS1_11target_archE1201ELNS1_3gpuE5ELNS1_3repE0EEENS1_30default_config_static_selectorELNS0_4arch9wavefront6targetE0EEEvT1_.has_recursion, 0
	.set _ZN7rocprim17ROCPRIM_400000_NS6detail17trampoline_kernelINS0_14default_configENS1_20scan_config_selectorIjEEZZNS1_9scan_implILNS1_25lookback_scan_determinismE0ELb1ELb1ES3_PjS8_jN6hipcub16HIPCUB_304000_NS3SumEjEEDaPvRmT3_T4_T5_mT6_P12ihipStream_tbENKUlT_T0_E_clISt17integral_constantIbLb1EESP_EEDaSK_SL_EUlSK_E0_NS1_11comp_targetILNS1_3genE10ELNS1_11target_archE1201ELNS1_3gpuE5ELNS1_3repE0EEENS1_30default_config_static_selectorELNS0_4arch9wavefront6targetE0EEEvT1_.has_indirect_call, 0
	.section	.AMDGPU.csdata,"",@progbits
; Kernel info:
; codeLenInByte = 0
; TotalNumSgprs: 0
; NumVgprs: 0
; ScratchSize: 0
; MemoryBound: 0
; FloatMode: 240
; IeeeMode: 1
; LDSByteSize: 0 bytes/workgroup (compile time only)
; SGPRBlocks: 0
; VGPRBlocks: 0
; NumSGPRsForWavesPerEU: 1
; NumVGPRsForWavesPerEU: 1
; NamedBarCnt: 0
; Occupancy: 16
; WaveLimiterHint : 0
; COMPUTE_PGM_RSRC2:SCRATCH_EN: 0
; COMPUTE_PGM_RSRC2:USER_SGPR: 2
; COMPUTE_PGM_RSRC2:TRAP_HANDLER: 0
; COMPUTE_PGM_RSRC2:TGID_X_EN: 1
; COMPUTE_PGM_RSRC2:TGID_Y_EN: 0
; COMPUTE_PGM_RSRC2:TGID_Z_EN: 0
; COMPUTE_PGM_RSRC2:TIDIG_COMP_CNT: 0
	.section	.text._ZN7rocprim17ROCPRIM_400000_NS6detail17trampoline_kernelINS0_14default_configENS1_20scan_config_selectorIjEEZZNS1_9scan_implILNS1_25lookback_scan_determinismE0ELb1ELb1ES3_PjS8_jN6hipcub16HIPCUB_304000_NS3SumEjEEDaPvRmT3_T4_T5_mT6_P12ihipStream_tbENKUlT_T0_E_clISt17integral_constantIbLb1EESP_EEDaSK_SL_EUlSK_E0_NS1_11comp_targetILNS1_3genE10ELNS1_11target_archE1200ELNS1_3gpuE4ELNS1_3repE0EEENS1_30default_config_static_selectorELNS0_4arch9wavefront6targetE0EEEvT1_,"axG",@progbits,_ZN7rocprim17ROCPRIM_400000_NS6detail17trampoline_kernelINS0_14default_configENS1_20scan_config_selectorIjEEZZNS1_9scan_implILNS1_25lookback_scan_determinismE0ELb1ELb1ES3_PjS8_jN6hipcub16HIPCUB_304000_NS3SumEjEEDaPvRmT3_T4_T5_mT6_P12ihipStream_tbENKUlT_T0_E_clISt17integral_constantIbLb1EESP_EEDaSK_SL_EUlSK_E0_NS1_11comp_targetILNS1_3genE10ELNS1_11target_archE1200ELNS1_3gpuE4ELNS1_3repE0EEENS1_30default_config_static_selectorELNS0_4arch9wavefront6targetE0EEEvT1_,comdat
	.protected	_ZN7rocprim17ROCPRIM_400000_NS6detail17trampoline_kernelINS0_14default_configENS1_20scan_config_selectorIjEEZZNS1_9scan_implILNS1_25lookback_scan_determinismE0ELb1ELb1ES3_PjS8_jN6hipcub16HIPCUB_304000_NS3SumEjEEDaPvRmT3_T4_T5_mT6_P12ihipStream_tbENKUlT_T0_E_clISt17integral_constantIbLb1EESP_EEDaSK_SL_EUlSK_E0_NS1_11comp_targetILNS1_3genE10ELNS1_11target_archE1200ELNS1_3gpuE4ELNS1_3repE0EEENS1_30default_config_static_selectorELNS0_4arch9wavefront6targetE0EEEvT1_ ; -- Begin function _ZN7rocprim17ROCPRIM_400000_NS6detail17trampoline_kernelINS0_14default_configENS1_20scan_config_selectorIjEEZZNS1_9scan_implILNS1_25lookback_scan_determinismE0ELb1ELb1ES3_PjS8_jN6hipcub16HIPCUB_304000_NS3SumEjEEDaPvRmT3_T4_T5_mT6_P12ihipStream_tbENKUlT_T0_E_clISt17integral_constantIbLb1EESP_EEDaSK_SL_EUlSK_E0_NS1_11comp_targetILNS1_3genE10ELNS1_11target_archE1200ELNS1_3gpuE4ELNS1_3repE0EEENS1_30default_config_static_selectorELNS0_4arch9wavefront6targetE0EEEvT1_
	.globl	_ZN7rocprim17ROCPRIM_400000_NS6detail17trampoline_kernelINS0_14default_configENS1_20scan_config_selectorIjEEZZNS1_9scan_implILNS1_25lookback_scan_determinismE0ELb1ELb1ES3_PjS8_jN6hipcub16HIPCUB_304000_NS3SumEjEEDaPvRmT3_T4_T5_mT6_P12ihipStream_tbENKUlT_T0_E_clISt17integral_constantIbLb1EESP_EEDaSK_SL_EUlSK_E0_NS1_11comp_targetILNS1_3genE10ELNS1_11target_archE1200ELNS1_3gpuE4ELNS1_3repE0EEENS1_30default_config_static_selectorELNS0_4arch9wavefront6targetE0EEEvT1_
	.p2align	8
	.type	_ZN7rocprim17ROCPRIM_400000_NS6detail17trampoline_kernelINS0_14default_configENS1_20scan_config_selectorIjEEZZNS1_9scan_implILNS1_25lookback_scan_determinismE0ELb1ELb1ES3_PjS8_jN6hipcub16HIPCUB_304000_NS3SumEjEEDaPvRmT3_T4_T5_mT6_P12ihipStream_tbENKUlT_T0_E_clISt17integral_constantIbLb1EESP_EEDaSK_SL_EUlSK_E0_NS1_11comp_targetILNS1_3genE10ELNS1_11target_archE1200ELNS1_3gpuE4ELNS1_3repE0EEENS1_30default_config_static_selectorELNS0_4arch9wavefront6targetE0EEEvT1_,@function
_ZN7rocprim17ROCPRIM_400000_NS6detail17trampoline_kernelINS0_14default_configENS1_20scan_config_selectorIjEEZZNS1_9scan_implILNS1_25lookback_scan_determinismE0ELb1ELb1ES3_PjS8_jN6hipcub16HIPCUB_304000_NS3SumEjEEDaPvRmT3_T4_T5_mT6_P12ihipStream_tbENKUlT_T0_E_clISt17integral_constantIbLb1EESP_EEDaSK_SL_EUlSK_E0_NS1_11comp_targetILNS1_3genE10ELNS1_11target_archE1200ELNS1_3gpuE4ELNS1_3repE0EEENS1_30default_config_static_selectorELNS0_4arch9wavefront6targetE0EEEvT1_: ; @_ZN7rocprim17ROCPRIM_400000_NS6detail17trampoline_kernelINS0_14default_configENS1_20scan_config_selectorIjEEZZNS1_9scan_implILNS1_25lookback_scan_determinismE0ELb1ELb1ES3_PjS8_jN6hipcub16HIPCUB_304000_NS3SumEjEEDaPvRmT3_T4_T5_mT6_P12ihipStream_tbENKUlT_T0_E_clISt17integral_constantIbLb1EESP_EEDaSK_SL_EUlSK_E0_NS1_11comp_targetILNS1_3genE10ELNS1_11target_archE1200ELNS1_3gpuE4ELNS1_3repE0EEENS1_30default_config_static_selectorELNS0_4arch9wavefront6targetE0EEEvT1_
; %bb.0:
	.section	.rodata,"a",@progbits
	.p2align	6, 0x0
	.amdhsa_kernel _ZN7rocprim17ROCPRIM_400000_NS6detail17trampoline_kernelINS0_14default_configENS1_20scan_config_selectorIjEEZZNS1_9scan_implILNS1_25lookback_scan_determinismE0ELb1ELb1ES3_PjS8_jN6hipcub16HIPCUB_304000_NS3SumEjEEDaPvRmT3_T4_T5_mT6_P12ihipStream_tbENKUlT_T0_E_clISt17integral_constantIbLb1EESP_EEDaSK_SL_EUlSK_E0_NS1_11comp_targetILNS1_3genE10ELNS1_11target_archE1200ELNS1_3gpuE4ELNS1_3repE0EEENS1_30default_config_static_selectorELNS0_4arch9wavefront6targetE0EEEvT1_
		.amdhsa_group_segment_fixed_size 0
		.amdhsa_private_segment_fixed_size 0
		.amdhsa_kernarg_size 32
		.amdhsa_user_sgpr_count 2
		.amdhsa_user_sgpr_dispatch_ptr 0
		.amdhsa_user_sgpr_queue_ptr 0
		.amdhsa_user_sgpr_kernarg_segment_ptr 1
		.amdhsa_user_sgpr_dispatch_id 0
		.amdhsa_user_sgpr_kernarg_preload_length 0
		.amdhsa_user_sgpr_kernarg_preload_offset 0
		.amdhsa_user_sgpr_private_segment_size 0
		.amdhsa_wavefront_size32 1
		.amdhsa_uses_dynamic_stack 0
		.amdhsa_enable_private_segment 0
		.amdhsa_system_sgpr_workgroup_id_x 1
		.amdhsa_system_sgpr_workgroup_id_y 0
		.amdhsa_system_sgpr_workgroup_id_z 0
		.amdhsa_system_sgpr_workgroup_info 0
		.amdhsa_system_vgpr_workitem_id 0
		.amdhsa_next_free_vgpr 1
		.amdhsa_next_free_sgpr 1
		.amdhsa_named_barrier_count 0
		.amdhsa_reserve_vcc 0
		.amdhsa_float_round_mode_32 0
		.amdhsa_float_round_mode_16_64 0
		.amdhsa_float_denorm_mode_32 3
		.amdhsa_float_denorm_mode_16_64 3
		.amdhsa_fp16_overflow 0
		.amdhsa_memory_ordered 1
		.amdhsa_forward_progress 1
		.amdhsa_inst_pref_size 0
		.amdhsa_round_robin_scheduling 0
		.amdhsa_exception_fp_ieee_invalid_op 0
		.amdhsa_exception_fp_denorm_src 0
		.amdhsa_exception_fp_ieee_div_zero 0
		.amdhsa_exception_fp_ieee_overflow 0
		.amdhsa_exception_fp_ieee_underflow 0
		.amdhsa_exception_fp_ieee_inexact 0
		.amdhsa_exception_int_div_zero 0
	.end_amdhsa_kernel
	.section	.text._ZN7rocprim17ROCPRIM_400000_NS6detail17trampoline_kernelINS0_14default_configENS1_20scan_config_selectorIjEEZZNS1_9scan_implILNS1_25lookback_scan_determinismE0ELb1ELb1ES3_PjS8_jN6hipcub16HIPCUB_304000_NS3SumEjEEDaPvRmT3_T4_T5_mT6_P12ihipStream_tbENKUlT_T0_E_clISt17integral_constantIbLb1EESP_EEDaSK_SL_EUlSK_E0_NS1_11comp_targetILNS1_3genE10ELNS1_11target_archE1200ELNS1_3gpuE4ELNS1_3repE0EEENS1_30default_config_static_selectorELNS0_4arch9wavefront6targetE0EEEvT1_,"axG",@progbits,_ZN7rocprim17ROCPRIM_400000_NS6detail17trampoline_kernelINS0_14default_configENS1_20scan_config_selectorIjEEZZNS1_9scan_implILNS1_25lookback_scan_determinismE0ELb1ELb1ES3_PjS8_jN6hipcub16HIPCUB_304000_NS3SumEjEEDaPvRmT3_T4_T5_mT6_P12ihipStream_tbENKUlT_T0_E_clISt17integral_constantIbLb1EESP_EEDaSK_SL_EUlSK_E0_NS1_11comp_targetILNS1_3genE10ELNS1_11target_archE1200ELNS1_3gpuE4ELNS1_3repE0EEENS1_30default_config_static_selectorELNS0_4arch9wavefront6targetE0EEEvT1_,comdat
.Lfunc_end44:
	.size	_ZN7rocprim17ROCPRIM_400000_NS6detail17trampoline_kernelINS0_14default_configENS1_20scan_config_selectorIjEEZZNS1_9scan_implILNS1_25lookback_scan_determinismE0ELb1ELb1ES3_PjS8_jN6hipcub16HIPCUB_304000_NS3SumEjEEDaPvRmT3_T4_T5_mT6_P12ihipStream_tbENKUlT_T0_E_clISt17integral_constantIbLb1EESP_EEDaSK_SL_EUlSK_E0_NS1_11comp_targetILNS1_3genE10ELNS1_11target_archE1200ELNS1_3gpuE4ELNS1_3repE0EEENS1_30default_config_static_selectorELNS0_4arch9wavefront6targetE0EEEvT1_, .Lfunc_end44-_ZN7rocprim17ROCPRIM_400000_NS6detail17trampoline_kernelINS0_14default_configENS1_20scan_config_selectorIjEEZZNS1_9scan_implILNS1_25lookback_scan_determinismE0ELb1ELb1ES3_PjS8_jN6hipcub16HIPCUB_304000_NS3SumEjEEDaPvRmT3_T4_T5_mT6_P12ihipStream_tbENKUlT_T0_E_clISt17integral_constantIbLb1EESP_EEDaSK_SL_EUlSK_E0_NS1_11comp_targetILNS1_3genE10ELNS1_11target_archE1200ELNS1_3gpuE4ELNS1_3repE0EEENS1_30default_config_static_selectorELNS0_4arch9wavefront6targetE0EEEvT1_
                                        ; -- End function
	.set _ZN7rocprim17ROCPRIM_400000_NS6detail17trampoline_kernelINS0_14default_configENS1_20scan_config_selectorIjEEZZNS1_9scan_implILNS1_25lookback_scan_determinismE0ELb1ELb1ES3_PjS8_jN6hipcub16HIPCUB_304000_NS3SumEjEEDaPvRmT3_T4_T5_mT6_P12ihipStream_tbENKUlT_T0_E_clISt17integral_constantIbLb1EESP_EEDaSK_SL_EUlSK_E0_NS1_11comp_targetILNS1_3genE10ELNS1_11target_archE1200ELNS1_3gpuE4ELNS1_3repE0EEENS1_30default_config_static_selectorELNS0_4arch9wavefront6targetE0EEEvT1_.num_vgpr, 0
	.set _ZN7rocprim17ROCPRIM_400000_NS6detail17trampoline_kernelINS0_14default_configENS1_20scan_config_selectorIjEEZZNS1_9scan_implILNS1_25lookback_scan_determinismE0ELb1ELb1ES3_PjS8_jN6hipcub16HIPCUB_304000_NS3SumEjEEDaPvRmT3_T4_T5_mT6_P12ihipStream_tbENKUlT_T0_E_clISt17integral_constantIbLb1EESP_EEDaSK_SL_EUlSK_E0_NS1_11comp_targetILNS1_3genE10ELNS1_11target_archE1200ELNS1_3gpuE4ELNS1_3repE0EEENS1_30default_config_static_selectorELNS0_4arch9wavefront6targetE0EEEvT1_.num_agpr, 0
	.set _ZN7rocprim17ROCPRIM_400000_NS6detail17trampoline_kernelINS0_14default_configENS1_20scan_config_selectorIjEEZZNS1_9scan_implILNS1_25lookback_scan_determinismE0ELb1ELb1ES3_PjS8_jN6hipcub16HIPCUB_304000_NS3SumEjEEDaPvRmT3_T4_T5_mT6_P12ihipStream_tbENKUlT_T0_E_clISt17integral_constantIbLb1EESP_EEDaSK_SL_EUlSK_E0_NS1_11comp_targetILNS1_3genE10ELNS1_11target_archE1200ELNS1_3gpuE4ELNS1_3repE0EEENS1_30default_config_static_selectorELNS0_4arch9wavefront6targetE0EEEvT1_.numbered_sgpr, 0
	.set _ZN7rocprim17ROCPRIM_400000_NS6detail17trampoline_kernelINS0_14default_configENS1_20scan_config_selectorIjEEZZNS1_9scan_implILNS1_25lookback_scan_determinismE0ELb1ELb1ES3_PjS8_jN6hipcub16HIPCUB_304000_NS3SumEjEEDaPvRmT3_T4_T5_mT6_P12ihipStream_tbENKUlT_T0_E_clISt17integral_constantIbLb1EESP_EEDaSK_SL_EUlSK_E0_NS1_11comp_targetILNS1_3genE10ELNS1_11target_archE1200ELNS1_3gpuE4ELNS1_3repE0EEENS1_30default_config_static_selectorELNS0_4arch9wavefront6targetE0EEEvT1_.num_named_barrier, 0
	.set _ZN7rocprim17ROCPRIM_400000_NS6detail17trampoline_kernelINS0_14default_configENS1_20scan_config_selectorIjEEZZNS1_9scan_implILNS1_25lookback_scan_determinismE0ELb1ELb1ES3_PjS8_jN6hipcub16HIPCUB_304000_NS3SumEjEEDaPvRmT3_T4_T5_mT6_P12ihipStream_tbENKUlT_T0_E_clISt17integral_constantIbLb1EESP_EEDaSK_SL_EUlSK_E0_NS1_11comp_targetILNS1_3genE10ELNS1_11target_archE1200ELNS1_3gpuE4ELNS1_3repE0EEENS1_30default_config_static_selectorELNS0_4arch9wavefront6targetE0EEEvT1_.private_seg_size, 0
	.set _ZN7rocprim17ROCPRIM_400000_NS6detail17trampoline_kernelINS0_14default_configENS1_20scan_config_selectorIjEEZZNS1_9scan_implILNS1_25lookback_scan_determinismE0ELb1ELb1ES3_PjS8_jN6hipcub16HIPCUB_304000_NS3SumEjEEDaPvRmT3_T4_T5_mT6_P12ihipStream_tbENKUlT_T0_E_clISt17integral_constantIbLb1EESP_EEDaSK_SL_EUlSK_E0_NS1_11comp_targetILNS1_3genE10ELNS1_11target_archE1200ELNS1_3gpuE4ELNS1_3repE0EEENS1_30default_config_static_selectorELNS0_4arch9wavefront6targetE0EEEvT1_.uses_vcc, 0
	.set _ZN7rocprim17ROCPRIM_400000_NS6detail17trampoline_kernelINS0_14default_configENS1_20scan_config_selectorIjEEZZNS1_9scan_implILNS1_25lookback_scan_determinismE0ELb1ELb1ES3_PjS8_jN6hipcub16HIPCUB_304000_NS3SumEjEEDaPvRmT3_T4_T5_mT6_P12ihipStream_tbENKUlT_T0_E_clISt17integral_constantIbLb1EESP_EEDaSK_SL_EUlSK_E0_NS1_11comp_targetILNS1_3genE10ELNS1_11target_archE1200ELNS1_3gpuE4ELNS1_3repE0EEENS1_30default_config_static_selectorELNS0_4arch9wavefront6targetE0EEEvT1_.uses_flat_scratch, 0
	.set _ZN7rocprim17ROCPRIM_400000_NS6detail17trampoline_kernelINS0_14default_configENS1_20scan_config_selectorIjEEZZNS1_9scan_implILNS1_25lookback_scan_determinismE0ELb1ELb1ES3_PjS8_jN6hipcub16HIPCUB_304000_NS3SumEjEEDaPvRmT3_T4_T5_mT6_P12ihipStream_tbENKUlT_T0_E_clISt17integral_constantIbLb1EESP_EEDaSK_SL_EUlSK_E0_NS1_11comp_targetILNS1_3genE10ELNS1_11target_archE1200ELNS1_3gpuE4ELNS1_3repE0EEENS1_30default_config_static_selectorELNS0_4arch9wavefront6targetE0EEEvT1_.has_dyn_sized_stack, 0
	.set _ZN7rocprim17ROCPRIM_400000_NS6detail17trampoline_kernelINS0_14default_configENS1_20scan_config_selectorIjEEZZNS1_9scan_implILNS1_25lookback_scan_determinismE0ELb1ELb1ES3_PjS8_jN6hipcub16HIPCUB_304000_NS3SumEjEEDaPvRmT3_T4_T5_mT6_P12ihipStream_tbENKUlT_T0_E_clISt17integral_constantIbLb1EESP_EEDaSK_SL_EUlSK_E0_NS1_11comp_targetILNS1_3genE10ELNS1_11target_archE1200ELNS1_3gpuE4ELNS1_3repE0EEENS1_30default_config_static_selectorELNS0_4arch9wavefront6targetE0EEEvT1_.has_recursion, 0
	.set _ZN7rocprim17ROCPRIM_400000_NS6detail17trampoline_kernelINS0_14default_configENS1_20scan_config_selectorIjEEZZNS1_9scan_implILNS1_25lookback_scan_determinismE0ELb1ELb1ES3_PjS8_jN6hipcub16HIPCUB_304000_NS3SumEjEEDaPvRmT3_T4_T5_mT6_P12ihipStream_tbENKUlT_T0_E_clISt17integral_constantIbLb1EESP_EEDaSK_SL_EUlSK_E0_NS1_11comp_targetILNS1_3genE10ELNS1_11target_archE1200ELNS1_3gpuE4ELNS1_3repE0EEENS1_30default_config_static_selectorELNS0_4arch9wavefront6targetE0EEEvT1_.has_indirect_call, 0
	.section	.AMDGPU.csdata,"",@progbits
; Kernel info:
; codeLenInByte = 0
; TotalNumSgprs: 0
; NumVgprs: 0
; ScratchSize: 0
; MemoryBound: 0
; FloatMode: 240
; IeeeMode: 1
; LDSByteSize: 0 bytes/workgroup (compile time only)
; SGPRBlocks: 0
; VGPRBlocks: 0
; NumSGPRsForWavesPerEU: 1
; NumVGPRsForWavesPerEU: 1
; NamedBarCnt: 0
; Occupancy: 16
; WaveLimiterHint : 0
; COMPUTE_PGM_RSRC2:SCRATCH_EN: 0
; COMPUTE_PGM_RSRC2:USER_SGPR: 2
; COMPUTE_PGM_RSRC2:TRAP_HANDLER: 0
; COMPUTE_PGM_RSRC2:TGID_X_EN: 1
; COMPUTE_PGM_RSRC2:TGID_Y_EN: 0
; COMPUTE_PGM_RSRC2:TGID_Z_EN: 0
; COMPUTE_PGM_RSRC2:TIDIG_COMP_CNT: 0
	.section	.text._ZN7rocprim17ROCPRIM_400000_NS6detail17trampoline_kernelINS0_14default_configENS1_20scan_config_selectorIjEEZZNS1_9scan_implILNS1_25lookback_scan_determinismE0ELb1ELb1ES3_PjS8_jN6hipcub16HIPCUB_304000_NS3SumEjEEDaPvRmT3_T4_T5_mT6_P12ihipStream_tbENKUlT_T0_E_clISt17integral_constantIbLb1EESP_EEDaSK_SL_EUlSK_E0_NS1_11comp_targetILNS1_3genE9ELNS1_11target_archE1100ELNS1_3gpuE3ELNS1_3repE0EEENS1_30default_config_static_selectorELNS0_4arch9wavefront6targetE0EEEvT1_,"axG",@progbits,_ZN7rocprim17ROCPRIM_400000_NS6detail17trampoline_kernelINS0_14default_configENS1_20scan_config_selectorIjEEZZNS1_9scan_implILNS1_25lookback_scan_determinismE0ELb1ELb1ES3_PjS8_jN6hipcub16HIPCUB_304000_NS3SumEjEEDaPvRmT3_T4_T5_mT6_P12ihipStream_tbENKUlT_T0_E_clISt17integral_constantIbLb1EESP_EEDaSK_SL_EUlSK_E0_NS1_11comp_targetILNS1_3genE9ELNS1_11target_archE1100ELNS1_3gpuE3ELNS1_3repE0EEENS1_30default_config_static_selectorELNS0_4arch9wavefront6targetE0EEEvT1_,comdat
	.protected	_ZN7rocprim17ROCPRIM_400000_NS6detail17trampoline_kernelINS0_14default_configENS1_20scan_config_selectorIjEEZZNS1_9scan_implILNS1_25lookback_scan_determinismE0ELb1ELb1ES3_PjS8_jN6hipcub16HIPCUB_304000_NS3SumEjEEDaPvRmT3_T4_T5_mT6_P12ihipStream_tbENKUlT_T0_E_clISt17integral_constantIbLb1EESP_EEDaSK_SL_EUlSK_E0_NS1_11comp_targetILNS1_3genE9ELNS1_11target_archE1100ELNS1_3gpuE3ELNS1_3repE0EEENS1_30default_config_static_selectorELNS0_4arch9wavefront6targetE0EEEvT1_ ; -- Begin function _ZN7rocprim17ROCPRIM_400000_NS6detail17trampoline_kernelINS0_14default_configENS1_20scan_config_selectorIjEEZZNS1_9scan_implILNS1_25lookback_scan_determinismE0ELb1ELb1ES3_PjS8_jN6hipcub16HIPCUB_304000_NS3SumEjEEDaPvRmT3_T4_T5_mT6_P12ihipStream_tbENKUlT_T0_E_clISt17integral_constantIbLb1EESP_EEDaSK_SL_EUlSK_E0_NS1_11comp_targetILNS1_3genE9ELNS1_11target_archE1100ELNS1_3gpuE3ELNS1_3repE0EEENS1_30default_config_static_selectorELNS0_4arch9wavefront6targetE0EEEvT1_
	.globl	_ZN7rocprim17ROCPRIM_400000_NS6detail17trampoline_kernelINS0_14default_configENS1_20scan_config_selectorIjEEZZNS1_9scan_implILNS1_25lookback_scan_determinismE0ELb1ELb1ES3_PjS8_jN6hipcub16HIPCUB_304000_NS3SumEjEEDaPvRmT3_T4_T5_mT6_P12ihipStream_tbENKUlT_T0_E_clISt17integral_constantIbLb1EESP_EEDaSK_SL_EUlSK_E0_NS1_11comp_targetILNS1_3genE9ELNS1_11target_archE1100ELNS1_3gpuE3ELNS1_3repE0EEENS1_30default_config_static_selectorELNS0_4arch9wavefront6targetE0EEEvT1_
	.p2align	8
	.type	_ZN7rocprim17ROCPRIM_400000_NS6detail17trampoline_kernelINS0_14default_configENS1_20scan_config_selectorIjEEZZNS1_9scan_implILNS1_25lookback_scan_determinismE0ELb1ELb1ES3_PjS8_jN6hipcub16HIPCUB_304000_NS3SumEjEEDaPvRmT3_T4_T5_mT6_P12ihipStream_tbENKUlT_T0_E_clISt17integral_constantIbLb1EESP_EEDaSK_SL_EUlSK_E0_NS1_11comp_targetILNS1_3genE9ELNS1_11target_archE1100ELNS1_3gpuE3ELNS1_3repE0EEENS1_30default_config_static_selectorELNS0_4arch9wavefront6targetE0EEEvT1_,@function
_ZN7rocprim17ROCPRIM_400000_NS6detail17trampoline_kernelINS0_14default_configENS1_20scan_config_selectorIjEEZZNS1_9scan_implILNS1_25lookback_scan_determinismE0ELb1ELb1ES3_PjS8_jN6hipcub16HIPCUB_304000_NS3SumEjEEDaPvRmT3_T4_T5_mT6_P12ihipStream_tbENKUlT_T0_E_clISt17integral_constantIbLb1EESP_EEDaSK_SL_EUlSK_E0_NS1_11comp_targetILNS1_3genE9ELNS1_11target_archE1100ELNS1_3gpuE3ELNS1_3repE0EEENS1_30default_config_static_selectorELNS0_4arch9wavefront6targetE0EEEvT1_: ; @_ZN7rocprim17ROCPRIM_400000_NS6detail17trampoline_kernelINS0_14default_configENS1_20scan_config_selectorIjEEZZNS1_9scan_implILNS1_25lookback_scan_determinismE0ELb1ELb1ES3_PjS8_jN6hipcub16HIPCUB_304000_NS3SumEjEEDaPvRmT3_T4_T5_mT6_P12ihipStream_tbENKUlT_T0_E_clISt17integral_constantIbLb1EESP_EEDaSK_SL_EUlSK_E0_NS1_11comp_targetILNS1_3genE9ELNS1_11target_archE1100ELNS1_3gpuE3ELNS1_3repE0EEENS1_30default_config_static_selectorELNS0_4arch9wavefront6targetE0EEEvT1_
; %bb.0:
	.section	.rodata,"a",@progbits
	.p2align	6, 0x0
	.amdhsa_kernel _ZN7rocprim17ROCPRIM_400000_NS6detail17trampoline_kernelINS0_14default_configENS1_20scan_config_selectorIjEEZZNS1_9scan_implILNS1_25lookback_scan_determinismE0ELb1ELb1ES3_PjS8_jN6hipcub16HIPCUB_304000_NS3SumEjEEDaPvRmT3_T4_T5_mT6_P12ihipStream_tbENKUlT_T0_E_clISt17integral_constantIbLb1EESP_EEDaSK_SL_EUlSK_E0_NS1_11comp_targetILNS1_3genE9ELNS1_11target_archE1100ELNS1_3gpuE3ELNS1_3repE0EEENS1_30default_config_static_selectorELNS0_4arch9wavefront6targetE0EEEvT1_
		.amdhsa_group_segment_fixed_size 0
		.amdhsa_private_segment_fixed_size 0
		.amdhsa_kernarg_size 32
		.amdhsa_user_sgpr_count 2
		.amdhsa_user_sgpr_dispatch_ptr 0
		.amdhsa_user_sgpr_queue_ptr 0
		.amdhsa_user_sgpr_kernarg_segment_ptr 1
		.amdhsa_user_sgpr_dispatch_id 0
		.amdhsa_user_sgpr_kernarg_preload_length 0
		.amdhsa_user_sgpr_kernarg_preload_offset 0
		.amdhsa_user_sgpr_private_segment_size 0
		.amdhsa_wavefront_size32 1
		.amdhsa_uses_dynamic_stack 0
		.amdhsa_enable_private_segment 0
		.amdhsa_system_sgpr_workgroup_id_x 1
		.amdhsa_system_sgpr_workgroup_id_y 0
		.amdhsa_system_sgpr_workgroup_id_z 0
		.amdhsa_system_sgpr_workgroup_info 0
		.amdhsa_system_vgpr_workitem_id 0
		.amdhsa_next_free_vgpr 1
		.amdhsa_next_free_sgpr 1
		.amdhsa_named_barrier_count 0
		.amdhsa_reserve_vcc 0
		.amdhsa_float_round_mode_32 0
		.amdhsa_float_round_mode_16_64 0
		.amdhsa_float_denorm_mode_32 3
		.amdhsa_float_denorm_mode_16_64 3
		.amdhsa_fp16_overflow 0
		.amdhsa_memory_ordered 1
		.amdhsa_forward_progress 1
		.amdhsa_inst_pref_size 0
		.amdhsa_round_robin_scheduling 0
		.amdhsa_exception_fp_ieee_invalid_op 0
		.amdhsa_exception_fp_denorm_src 0
		.amdhsa_exception_fp_ieee_div_zero 0
		.amdhsa_exception_fp_ieee_overflow 0
		.amdhsa_exception_fp_ieee_underflow 0
		.amdhsa_exception_fp_ieee_inexact 0
		.amdhsa_exception_int_div_zero 0
	.end_amdhsa_kernel
	.section	.text._ZN7rocprim17ROCPRIM_400000_NS6detail17trampoline_kernelINS0_14default_configENS1_20scan_config_selectorIjEEZZNS1_9scan_implILNS1_25lookback_scan_determinismE0ELb1ELb1ES3_PjS8_jN6hipcub16HIPCUB_304000_NS3SumEjEEDaPvRmT3_T4_T5_mT6_P12ihipStream_tbENKUlT_T0_E_clISt17integral_constantIbLb1EESP_EEDaSK_SL_EUlSK_E0_NS1_11comp_targetILNS1_3genE9ELNS1_11target_archE1100ELNS1_3gpuE3ELNS1_3repE0EEENS1_30default_config_static_selectorELNS0_4arch9wavefront6targetE0EEEvT1_,"axG",@progbits,_ZN7rocprim17ROCPRIM_400000_NS6detail17trampoline_kernelINS0_14default_configENS1_20scan_config_selectorIjEEZZNS1_9scan_implILNS1_25lookback_scan_determinismE0ELb1ELb1ES3_PjS8_jN6hipcub16HIPCUB_304000_NS3SumEjEEDaPvRmT3_T4_T5_mT6_P12ihipStream_tbENKUlT_T0_E_clISt17integral_constantIbLb1EESP_EEDaSK_SL_EUlSK_E0_NS1_11comp_targetILNS1_3genE9ELNS1_11target_archE1100ELNS1_3gpuE3ELNS1_3repE0EEENS1_30default_config_static_selectorELNS0_4arch9wavefront6targetE0EEEvT1_,comdat
.Lfunc_end45:
	.size	_ZN7rocprim17ROCPRIM_400000_NS6detail17trampoline_kernelINS0_14default_configENS1_20scan_config_selectorIjEEZZNS1_9scan_implILNS1_25lookback_scan_determinismE0ELb1ELb1ES3_PjS8_jN6hipcub16HIPCUB_304000_NS3SumEjEEDaPvRmT3_T4_T5_mT6_P12ihipStream_tbENKUlT_T0_E_clISt17integral_constantIbLb1EESP_EEDaSK_SL_EUlSK_E0_NS1_11comp_targetILNS1_3genE9ELNS1_11target_archE1100ELNS1_3gpuE3ELNS1_3repE0EEENS1_30default_config_static_selectorELNS0_4arch9wavefront6targetE0EEEvT1_, .Lfunc_end45-_ZN7rocprim17ROCPRIM_400000_NS6detail17trampoline_kernelINS0_14default_configENS1_20scan_config_selectorIjEEZZNS1_9scan_implILNS1_25lookback_scan_determinismE0ELb1ELb1ES3_PjS8_jN6hipcub16HIPCUB_304000_NS3SumEjEEDaPvRmT3_T4_T5_mT6_P12ihipStream_tbENKUlT_T0_E_clISt17integral_constantIbLb1EESP_EEDaSK_SL_EUlSK_E0_NS1_11comp_targetILNS1_3genE9ELNS1_11target_archE1100ELNS1_3gpuE3ELNS1_3repE0EEENS1_30default_config_static_selectorELNS0_4arch9wavefront6targetE0EEEvT1_
                                        ; -- End function
	.set _ZN7rocprim17ROCPRIM_400000_NS6detail17trampoline_kernelINS0_14default_configENS1_20scan_config_selectorIjEEZZNS1_9scan_implILNS1_25lookback_scan_determinismE0ELb1ELb1ES3_PjS8_jN6hipcub16HIPCUB_304000_NS3SumEjEEDaPvRmT3_T4_T5_mT6_P12ihipStream_tbENKUlT_T0_E_clISt17integral_constantIbLb1EESP_EEDaSK_SL_EUlSK_E0_NS1_11comp_targetILNS1_3genE9ELNS1_11target_archE1100ELNS1_3gpuE3ELNS1_3repE0EEENS1_30default_config_static_selectorELNS0_4arch9wavefront6targetE0EEEvT1_.num_vgpr, 0
	.set _ZN7rocprim17ROCPRIM_400000_NS6detail17trampoline_kernelINS0_14default_configENS1_20scan_config_selectorIjEEZZNS1_9scan_implILNS1_25lookback_scan_determinismE0ELb1ELb1ES3_PjS8_jN6hipcub16HIPCUB_304000_NS3SumEjEEDaPvRmT3_T4_T5_mT6_P12ihipStream_tbENKUlT_T0_E_clISt17integral_constantIbLb1EESP_EEDaSK_SL_EUlSK_E0_NS1_11comp_targetILNS1_3genE9ELNS1_11target_archE1100ELNS1_3gpuE3ELNS1_3repE0EEENS1_30default_config_static_selectorELNS0_4arch9wavefront6targetE0EEEvT1_.num_agpr, 0
	.set _ZN7rocprim17ROCPRIM_400000_NS6detail17trampoline_kernelINS0_14default_configENS1_20scan_config_selectorIjEEZZNS1_9scan_implILNS1_25lookback_scan_determinismE0ELb1ELb1ES3_PjS8_jN6hipcub16HIPCUB_304000_NS3SumEjEEDaPvRmT3_T4_T5_mT6_P12ihipStream_tbENKUlT_T0_E_clISt17integral_constantIbLb1EESP_EEDaSK_SL_EUlSK_E0_NS1_11comp_targetILNS1_3genE9ELNS1_11target_archE1100ELNS1_3gpuE3ELNS1_3repE0EEENS1_30default_config_static_selectorELNS0_4arch9wavefront6targetE0EEEvT1_.numbered_sgpr, 0
	.set _ZN7rocprim17ROCPRIM_400000_NS6detail17trampoline_kernelINS0_14default_configENS1_20scan_config_selectorIjEEZZNS1_9scan_implILNS1_25lookback_scan_determinismE0ELb1ELb1ES3_PjS8_jN6hipcub16HIPCUB_304000_NS3SumEjEEDaPvRmT3_T4_T5_mT6_P12ihipStream_tbENKUlT_T0_E_clISt17integral_constantIbLb1EESP_EEDaSK_SL_EUlSK_E0_NS1_11comp_targetILNS1_3genE9ELNS1_11target_archE1100ELNS1_3gpuE3ELNS1_3repE0EEENS1_30default_config_static_selectorELNS0_4arch9wavefront6targetE0EEEvT1_.num_named_barrier, 0
	.set _ZN7rocprim17ROCPRIM_400000_NS6detail17trampoline_kernelINS0_14default_configENS1_20scan_config_selectorIjEEZZNS1_9scan_implILNS1_25lookback_scan_determinismE0ELb1ELb1ES3_PjS8_jN6hipcub16HIPCUB_304000_NS3SumEjEEDaPvRmT3_T4_T5_mT6_P12ihipStream_tbENKUlT_T0_E_clISt17integral_constantIbLb1EESP_EEDaSK_SL_EUlSK_E0_NS1_11comp_targetILNS1_3genE9ELNS1_11target_archE1100ELNS1_3gpuE3ELNS1_3repE0EEENS1_30default_config_static_selectorELNS0_4arch9wavefront6targetE0EEEvT1_.private_seg_size, 0
	.set _ZN7rocprim17ROCPRIM_400000_NS6detail17trampoline_kernelINS0_14default_configENS1_20scan_config_selectorIjEEZZNS1_9scan_implILNS1_25lookback_scan_determinismE0ELb1ELb1ES3_PjS8_jN6hipcub16HIPCUB_304000_NS3SumEjEEDaPvRmT3_T4_T5_mT6_P12ihipStream_tbENKUlT_T0_E_clISt17integral_constantIbLb1EESP_EEDaSK_SL_EUlSK_E0_NS1_11comp_targetILNS1_3genE9ELNS1_11target_archE1100ELNS1_3gpuE3ELNS1_3repE0EEENS1_30default_config_static_selectorELNS0_4arch9wavefront6targetE0EEEvT1_.uses_vcc, 0
	.set _ZN7rocprim17ROCPRIM_400000_NS6detail17trampoline_kernelINS0_14default_configENS1_20scan_config_selectorIjEEZZNS1_9scan_implILNS1_25lookback_scan_determinismE0ELb1ELb1ES3_PjS8_jN6hipcub16HIPCUB_304000_NS3SumEjEEDaPvRmT3_T4_T5_mT6_P12ihipStream_tbENKUlT_T0_E_clISt17integral_constantIbLb1EESP_EEDaSK_SL_EUlSK_E0_NS1_11comp_targetILNS1_3genE9ELNS1_11target_archE1100ELNS1_3gpuE3ELNS1_3repE0EEENS1_30default_config_static_selectorELNS0_4arch9wavefront6targetE0EEEvT1_.uses_flat_scratch, 0
	.set _ZN7rocprim17ROCPRIM_400000_NS6detail17trampoline_kernelINS0_14default_configENS1_20scan_config_selectorIjEEZZNS1_9scan_implILNS1_25lookback_scan_determinismE0ELb1ELb1ES3_PjS8_jN6hipcub16HIPCUB_304000_NS3SumEjEEDaPvRmT3_T4_T5_mT6_P12ihipStream_tbENKUlT_T0_E_clISt17integral_constantIbLb1EESP_EEDaSK_SL_EUlSK_E0_NS1_11comp_targetILNS1_3genE9ELNS1_11target_archE1100ELNS1_3gpuE3ELNS1_3repE0EEENS1_30default_config_static_selectorELNS0_4arch9wavefront6targetE0EEEvT1_.has_dyn_sized_stack, 0
	.set _ZN7rocprim17ROCPRIM_400000_NS6detail17trampoline_kernelINS0_14default_configENS1_20scan_config_selectorIjEEZZNS1_9scan_implILNS1_25lookback_scan_determinismE0ELb1ELb1ES3_PjS8_jN6hipcub16HIPCUB_304000_NS3SumEjEEDaPvRmT3_T4_T5_mT6_P12ihipStream_tbENKUlT_T0_E_clISt17integral_constantIbLb1EESP_EEDaSK_SL_EUlSK_E0_NS1_11comp_targetILNS1_3genE9ELNS1_11target_archE1100ELNS1_3gpuE3ELNS1_3repE0EEENS1_30default_config_static_selectorELNS0_4arch9wavefront6targetE0EEEvT1_.has_recursion, 0
	.set _ZN7rocprim17ROCPRIM_400000_NS6detail17trampoline_kernelINS0_14default_configENS1_20scan_config_selectorIjEEZZNS1_9scan_implILNS1_25lookback_scan_determinismE0ELb1ELb1ES3_PjS8_jN6hipcub16HIPCUB_304000_NS3SumEjEEDaPvRmT3_T4_T5_mT6_P12ihipStream_tbENKUlT_T0_E_clISt17integral_constantIbLb1EESP_EEDaSK_SL_EUlSK_E0_NS1_11comp_targetILNS1_3genE9ELNS1_11target_archE1100ELNS1_3gpuE3ELNS1_3repE0EEENS1_30default_config_static_selectorELNS0_4arch9wavefront6targetE0EEEvT1_.has_indirect_call, 0
	.section	.AMDGPU.csdata,"",@progbits
; Kernel info:
; codeLenInByte = 0
; TotalNumSgprs: 0
; NumVgprs: 0
; ScratchSize: 0
; MemoryBound: 0
; FloatMode: 240
; IeeeMode: 1
; LDSByteSize: 0 bytes/workgroup (compile time only)
; SGPRBlocks: 0
; VGPRBlocks: 0
; NumSGPRsForWavesPerEU: 1
; NumVGPRsForWavesPerEU: 1
; NamedBarCnt: 0
; Occupancy: 16
; WaveLimiterHint : 0
; COMPUTE_PGM_RSRC2:SCRATCH_EN: 0
; COMPUTE_PGM_RSRC2:USER_SGPR: 2
; COMPUTE_PGM_RSRC2:TRAP_HANDLER: 0
; COMPUTE_PGM_RSRC2:TGID_X_EN: 1
; COMPUTE_PGM_RSRC2:TGID_Y_EN: 0
; COMPUTE_PGM_RSRC2:TGID_Z_EN: 0
; COMPUTE_PGM_RSRC2:TIDIG_COMP_CNT: 0
	.section	.text._ZN7rocprim17ROCPRIM_400000_NS6detail17trampoline_kernelINS0_14default_configENS1_20scan_config_selectorIjEEZZNS1_9scan_implILNS1_25lookback_scan_determinismE0ELb1ELb1ES3_PjS8_jN6hipcub16HIPCUB_304000_NS3SumEjEEDaPvRmT3_T4_T5_mT6_P12ihipStream_tbENKUlT_T0_E_clISt17integral_constantIbLb1EESP_EEDaSK_SL_EUlSK_E0_NS1_11comp_targetILNS1_3genE8ELNS1_11target_archE1030ELNS1_3gpuE2ELNS1_3repE0EEENS1_30default_config_static_selectorELNS0_4arch9wavefront6targetE0EEEvT1_,"axG",@progbits,_ZN7rocprim17ROCPRIM_400000_NS6detail17trampoline_kernelINS0_14default_configENS1_20scan_config_selectorIjEEZZNS1_9scan_implILNS1_25lookback_scan_determinismE0ELb1ELb1ES3_PjS8_jN6hipcub16HIPCUB_304000_NS3SumEjEEDaPvRmT3_T4_T5_mT6_P12ihipStream_tbENKUlT_T0_E_clISt17integral_constantIbLb1EESP_EEDaSK_SL_EUlSK_E0_NS1_11comp_targetILNS1_3genE8ELNS1_11target_archE1030ELNS1_3gpuE2ELNS1_3repE0EEENS1_30default_config_static_selectorELNS0_4arch9wavefront6targetE0EEEvT1_,comdat
	.protected	_ZN7rocprim17ROCPRIM_400000_NS6detail17trampoline_kernelINS0_14default_configENS1_20scan_config_selectorIjEEZZNS1_9scan_implILNS1_25lookback_scan_determinismE0ELb1ELb1ES3_PjS8_jN6hipcub16HIPCUB_304000_NS3SumEjEEDaPvRmT3_T4_T5_mT6_P12ihipStream_tbENKUlT_T0_E_clISt17integral_constantIbLb1EESP_EEDaSK_SL_EUlSK_E0_NS1_11comp_targetILNS1_3genE8ELNS1_11target_archE1030ELNS1_3gpuE2ELNS1_3repE0EEENS1_30default_config_static_selectorELNS0_4arch9wavefront6targetE0EEEvT1_ ; -- Begin function _ZN7rocprim17ROCPRIM_400000_NS6detail17trampoline_kernelINS0_14default_configENS1_20scan_config_selectorIjEEZZNS1_9scan_implILNS1_25lookback_scan_determinismE0ELb1ELb1ES3_PjS8_jN6hipcub16HIPCUB_304000_NS3SumEjEEDaPvRmT3_T4_T5_mT6_P12ihipStream_tbENKUlT_T0_E_clISt17integral_constantIbLb1EESP_EEDaSK_SL_EUlSK_E0_NS1_11comp_targetILNS1_3genE8ELNS1_11target_archE1030ELNS1_3gpuE2ELNS1_3repE0EEENS1_30default_config_static_selectorELNS0_4arch9wavefront6targetE0EEEvT1_
	.globl	_ZN7rocprim17ROCPRIM_400000_NS6detail17trampoline_kernelINS0_14default_configENS1_20scan_config_selectorIjEEZZNS1_9scan_implILNS1_25lookback_scan_determinismE0ELb1ELb1ES3_PjS8_jN6hipcub16HIPCUB_304000_NS3SumEjEEDaPvRmT3_T4_T5_mT6_P12ihipStream_tbENKUlT_T0_E_clISt17integral_constantIbLb1EESP_EEDaSK_SL_EUlSK_E0_NS1_11comp_targetILNS1_3genE8ELNS1_11target_archE1030ELNS1_3gpuE2ELNS1_3repE0EEENS1_30default_config_static_selectorELNS0_4arch9wavefront6targetE0EEEvT1_
	.p2align	8
	.type	_ZN7rocprim17ROCPRIM_400000_NS6detail17trampoline_kernelINS0_14default_configENS1_20scan_config_selectorIjEEZZNS1_9scan_implILNS1_25lookback_scan_determinismE0ELb1ELb1ES3_PjS8_jN6hipcub16HIPCUB_304000_NS3SumEjEEDaPvRmT3_T4_T5_mT6_P12ihipStream_tbENKUlT_T0_E_clISt17integral_constantIbLb1EESP_EEDaSK_SL_EUlSK_E0_NS1_11comp_targetILNS1_3genE8ELNS1_11target_archE1030ELNS1_3gpuE2ELNS1_3repE0EEENS1_30default_config_static_selectorELNS0_4arch9wavefront6targetE0EEEvT1_,@function
_ZN7rocprim17ROCPRIM_400000_NS6detail17trampoline_kernelINS0_14default_configENS1_20scan_config_selectorIjEEZZNS1_9scan_implILNS1_25lookback_scan_determinismE0ELb1ELb1ES3_PjS8_jN6hipcub16HIPCUB_304000_NS3SumEjEEDaPvRmT3_T4_T5_mT6_P12ihipStream_tbENKUlT_T0_E_clISt17integral_constantIbLb1EESP_EEDaSK_SL_EUlSK_E0_NS1_11comp_targetILNS1_3genE8ELNS1_11target_archE1030ELNS1_3gpuE2ELNS1_3repE0EEENS1_30default_config_static_selectorELNS0_4arch9wavefront6targetE0EEEvT1_: ; @_ZN7rocprim17ROCPRIM_400000_NS6detail17trampoline_kernelINS0_14default_configENS1_20scan_config_selectorIjEEZZNS1_9scan_implILNS1_25lookback_scan_determinismE0ELb1ELb1ES3_PjS8_jN6hipcub16HIPCUB_304000_NS3SumEjEEDaPvRmT3_T4_T5_mT6_P12ihipStream_tbENKUlT_T0_E_clISt17integral_constantIbLb1EESP_EEDaSK_SL_EUlSK_E0_NS1_11comp_targetILNS1_3genE8ELNS1_11target_archE1030ELNS1_3gpuE2ELNS1_3repE0EEENS1_30default_config_static_selectorELNS0_4arch9wavefront6targetE0EEEvT1_
; %bb.0:
	.section	.rodata,"a",@progbits
	.p2align	6, 0x0
	.amdhsa_kernel _ZN7rocprim17ROCPRIM_400000_NS6detail17trampoline_kernelINS0_14default_configENS1_20scan_config_selectorIjEEZZNS1_9scan_implILNS1_25lookback_scan_determinismE0ELb1ELb1ES3_PjS8_jN6hipcub16HIPCUB_304000_NS3SumEjEEDaPvRmT3_T4_T5_mT6_P12ihipStream_tbENKUlT_T0_E_clISt17integral_constantIbLb1EESP_EEDaSK_SL_EUlSK_E0_NS1_11comp_targetILNS1_3genE8ELNS1_11target_archE1030ELNS1_3gpuE2ELNS1_3repE0EEENS1_30default_config_static_selectorELNS0_4arch9wavefront6targetE0EEEvT1_
		.amdhsa_group_segment_fixed_size 0
		.amdhsa_private_segment_fixed_size 0
		.amdhsa_kernarg_size 32
		.amdhsa_user_sgpr_count 2
		.amdhsa_user_sgpr_dispatch_ptr 0
		.amdhsa_user_sgpr_queue_ptr 0
		.amdhsa_user_sgpr_kernarg_segment_ptr 1
		.amdhsa_user_sgpr_dispatch_id 0
		.amdhsa_user_sgpr_kernarg_preload_length 0
		.amdhsa_user_sgpr_kernarg_preload_offset 0
		.amdhsa_user_sgpr_private_segment_size 0
		.amdhsa_wavefront_size32 1
		.amdhsa_uses_dynamic_stack 0
		.amdhsa_enable_private_segment 0
		.amdhsa_system_sgpr_workgroup_id_x 1
		.amdhsa_system_sgpr_workgroup_id_y 0
		.amdhsa_system_sgpr_workgroup_id_z 0
		.amdhsa_system_sgpr_workgroup_info 0
		.amdhsa_system_vgpr_workitem_id 0
		.amdhsa_next_free_vgpr 1
		.amdhsa_next_free_sgpr 1
		.amdhsa_named_barrier_count 0
		.amdhsa_reserve_vcc 0
		.amdhsa_float_round_mode_32 0
		.amdhsa_float_round_mode_16_64 0
		.amdhsa_float_denorm_mode_32 3
		.amdhsa_float_denorm_mode_16_64 3
		.amdhsa_fp16_overflow 0
		.amdhsa_memory_ordered 1
		.amdhsa_forward_progress 1
		.amdhsa_inst_pref_size 0
		.amdhsa_round_robin_scheduling 0
		.amdhsa_exception_fp_ieee_invalid_op 0
		.amdhsa_exception_fp_denorm_src 0
		.amdhsa_exception_fp_ieee_div_zero 0
		.amdhsa_exception_fp_ieee_overflow 0
		.amdhsa_exception_fp_ieee_underflow 0
		.amdhsa_exception_fp_ieee_inexact 0
		.amdhsa_exception_int_div_zero 0
	.end_amdhsa_kernel
	.section	.text._ZN7rocprim17ROCPRIM_400000_NS6detail17trampoline_kernelINS0_14default_configENS1_20scan_config_selectorIjEEZZNS1_9scan_implILNS1_25lookback_scan_determinismE0ELb1ELb1ES3_PjS8_jN6hipcub16HIPCUB_304000_NS3SumEjEEDaPvRmT3_T4_T5_mT6_P12ihipStream_tbENKUlT_T0_E_clISt17integral_constantIbLb1EESP_EEDaSK_SL_EUlSK_E0_NS1_11comp_targetILNS1_3genE8ELNS1_11target_archE1030ELNS1_3gpuE2ELNS1_3repE0EEENS1_30default_config_static_selectorELNS0_4arch9wavefront6targetE0EEEvT1_,"axG",@progbits,_ZN7rocprim17ROCPRIM_400000_NS6detail17trampoline_kernelINS0_14default_configENS1_20scan_config_selectorIjEEZZNS1_9scan_implILNS1_25lookback_scan_determinismE0ELb1ELb1ES3_PjS8_jN6hipcub16HIPCUB_304000_NS3SumEjEEDaPvRmT3_T4_T5_mT6_P12ihipStream_tbENKUlT_T0_E_clISt17integral_constantIbLb1EESP_EEDaSK_SL_EUlSK_E0_NS1_11comp_targetILNS1_3genE8ELNS1_11target_archE1030ELNS1_3gpuE2ELNS1_3repE0EEENS1_30default_config_static_selectorELNS0_4arch9wavefront6targetE0EEEvT1_,comdat
.Lfunc_end46:
	.size	_ZN7rocprim17ROCPRIM_400000_NS6detail17trampoline_kernelINS0_14default_configENS1_20scan_config_selectorIjEEZZNS1_9scan_implILNS1_25lookback_scan_determinismE0ELb1ELb1ES3_PjS8_jN6hipcub16HIPCUB_304000_NS3SumEjEEDaPvRmT3_T4_T5_mT6_P12ihipStream_tbENKUlT_T0_E_clISt17integral_constantIbLb1EESP_EEDaSK_SL_EUlSK_E0_NS1_11comp_targetILNS1_3genE8ELNS1_11target_archE1030ELNS1_3gpuE2ELNS1_3repE0EEENS1_30default_config_static_selectorELNS0_4arch9wavefront6targetE0EEEvT1_, .Lfunc_end46-_ZN7rocprim17ROCPRIM_400000_NS6detail17trampoline_kernelINS0_14default_configENS1_20scan_config_selectorIjEEZZNS1_9scan_implILNS1_25lookback_scan_determinismE0ELb1ELb1ES3_PjS8_jN6hipcub16HIPCUB_304000_NS3SumEjEEDaPvRmT3_T4_T5_mT6_P12ihipStream_tbENKUlT_T0_E_clISt17integral_constantIbLb1EESP_EEDaSK_SL_EUlSK_E0_NS1_11comp_targetILNS1_3genE8ELNS1_11target_archE1030ELNS1_3gpuE2ELNS1_3repE0EEENS1_30default_config_static_selectorELNS0_4arch9wavefront6targetE0EEEvT1_
                                        ; -- End function
	.set _ZN7rocprim17ROCPRIM_400000_NS6detail17trampoline_kernelINS0_14default_configENS1_20scan_config_selectorIjEEZZNS1_9scan_implILNS1_25lookback_scan_determinismE0ELb1ELb1ES3_PjS8_jN6hipcub16HIPCUB_304000_NS3SumEjEEDaPvRmT3_T4_T5_mT6_P12ihipStream_tbENKUlT_T0_E_clISt17integral_constantIbLb1EESP_EEDaSK_SL_EUlSK_E0_NS1_11comp_targetILNS1_3genE8ELNS1_11target_archE1030ELNS1_3gpuE2ELNS1_3repE0EEENS1_30default_config_static_selectorELNS0_4arch9wavefront6targetE0EEEvT1_.num_vgpr, 0
	.set _ZN7rocprim17ROCPRIM_400000_NS6detail17trampoline_kernelINS0_14default_configENS1_20scan_config_selectorIjEEZZNS1_9scan_implILNS1_25lookback_scan_determinismE0ELb1ELb1ES3_PjS8_jN6hipcub16HIPCUB_304000_NS3SumEjEEDaPvRmT3_T4_T5_mT6_P12ihipStream_tbENKUlT_T0_E_clISt17integral_constantIbLb1EESP_EEDaSK_SL_EUlSK_E0_NS1_11comp_targetILNS1_3genE8ELNS1_11target_archE1030ELNS1_3gpuE2ELNS1_3repE0EEENS1_30default_config_static_selectorELNS0_4arch9wavefront6targetE0EEEvT1_.num_agpr, 0
	.set _ZN7rocprim17ROCPRIM_400000_NS6detail17trampoline_kernelINS0_14default_configENS1_20scan_config_selectorIjEEZZNS1_9scan_implILNS1_25lookback_scan_determinismE0ELb1ELb1ES3_PjS8_jN6hipcub16HIPCUB_304000_NS3SumEjEEDaPvRmT3_T4_T5_mT6_P12ihipStream_tbENKUlT_T0_E_clISt17integral_constantIbLb1EESP_EEDaSK_SL_EUlSK_E0_NS1_11comp_targetILNS1_3genE8ELNS1_11target_archE1030ELNS1_3gpuE2ELNS1_3repE0EEENS1_30default_config_static_selectorELNS0_4arch9wavefront6targetE0EEEvT1_.numbered_sgpr, 0
	.set _ZN7rocprim17ROCPRIM_400000_NS6detail17trampoline_kernelINS0_14default_configENS1_20scan_config_selectorIjEEZZNS1_9scan_implILNS1_25lookback_scan_determinismE0ELb1ELb1ES3_PjS8_jN6hipcub16HIPCUB_304000_NS3SumEjEEDaPvRmT3_T4_T5_mT6_P12ihipStream_tbENKUlT_T0_E_clISt17integral_constantIbLb1EESP_EEDaSK_SL_EUlSK_E0_NS1_11comp_targetILNS1_3genE8ELNS1_11target_archE1030ELNS1_3gpuE2ELNS1_3repE0EEENS1_30default_config_static_selectorELNS0_4arch9wavefront6targetE0EEEvT1_.num_named_barrier, 0
	.set _ZN7rocprim17ROCPRIM_400000_NS6detail17trampoline_kernelINS0_14default_configENS1_20scan_config_selectorIjEEZZNS1_9scan_implILNS1_25lookback_scan_determinismE0ELb1ELb1ES3_PjS8_jN6hipcub16HIPCUB_304000_NS3SumEjEEDaPvRmT3_T4_T5_mT6_P12ihipStream_tbENKUlT_T0_E_clISt17integral_constantIbLb1EESP_EEDaSK_SL_EUlSK_E0_NS1_11comp_targetILNS1_3genE8ELNS1_11target_archE1030ELNS1_3gpuE2ELNS1_3repE0EEENS1_30default_config_static_selectorELNS0_4arch9wavefront6targetE0EEEvT1_.private_seg_size, 0
	.set _ZN7rocprim17ROCPRIM_400000_NS6detail17trampoline_kernelINS0_14default_configENS1_20scan_config_selectorIjEEZZNS1_9scan_implILNS1_25lookback_scan_determinismE0ELb1ELb1ES3_PjS8_jN6hipcub16HIPCUB_304000_NS3SumEjEEDaPvRmT3_T4_T5_mT6_P12ihipStream_tbENKUlT_T0_E_clISt17integral_constantIbLb1EESP_EEDaSK_SL_EUlSK_E0_NS1_11comp_targetILNS1_3genE8ELNS1_11target_archE1030ELNS1_3gpuE2ELNS1_3repE0EEENS1_30default_config_static_selectorELNS0_4arch9wavefront6targetE0EEEvT1_.uses_vcc, 0
	.set _ZN7rocprim17ROCPRIM_400000_NS6detail17trampoline_kernelINS0_14default_configENS1_20scan_config_selectorIjEEZZNS1_9scan_implILNS1_25lookback_scan_determinismE0ELb1ELb1ES3_PjS8_jN6hipcub16HIPCUB_304000_NS3SumEjEEDaPvRmT3_T4_T5_mT6_P12ihipStream_tbENKUlT_T0_E_clISt17integral_constantIbLb1EESP_EEDaSK_SL_EUlSK_E0_NS1_11comp_targetILNS1_3genE8ELNS1_11target_archE1030ELNS1_3gpuE2ELNS1_3repE0EEENS1_30default_config_static_selectorELNS0_4arch9wavefront6targetE0EEEvT1_.uses_flat_scratch, 0
	.set _ZN7rocprim17ROCPRIM_400000_NS6detail17trampoline_kernelINS0_14default_configENS1_20scan_config_selectorIjEEZZNS1_9scan_implILNS1_25lookback_scan_determinismE0ELb1ELb1ES3_PjS8_jN6hipcub16HIPCUB_304000_NS3SumEjEEDaPvRmT3_T4_T5_mT6_P12ihipStream_tbENKUlT_T0_E_clISt17integral_constantIbLb1EESP_EEDaSK_SL_EUlSK_E0_NS1_11comp_targetILNS1_3genE8ELNS1_11target_archE1030ELNS1_3gpuE2ELNS1_3repE0EEENS1_30default_config_static_selectorELNS0_4arch9wavefront6targetE0EEEvT1_.has_dyn_sized_stack, 0
	.set _ZN7rocprim17ROCPRIM_400000_NS6detail17trampoline_kernelINS0_14default_configENS1_20scan_config_selectorIjEEZZNS1_9scan_implILNS1_25lookback_scan_determinismE0ELb1ELb1ES3_PjS8_jN6hipcub16HIPCUB_304000_NS3SumEjEEDaPvRmT3_T4_T5_mT6_P12ihipStream_tbENKUlT_T0_E_clISt17integral_constantIbLb1EESP_EEDaSK_SL_EUlSK_E0_NS1_11comp_targetILNS1_3genE8ELNS1_11target_archE1030ELNS1_3gpuE2ELNS1_3repE0EEENS1_30default_config_static_selectorELNS0_4arch9wavefront6targetE0EEEvT1_.has_recursion, 0
	.set _ZN7rocprim17ROCPRIM_400000_NS6detail17trampoline_kernelINS0_14default_configENS1_20scan_config_selectorIjEEZZNS1_9scan_implILNS1_25lookback_scan_determinismE0ELb1ELb1ES3_PjS8_jN6hipcub16HIPCUB_304000_NS3SumEjEEDaPvRmT3_T4_T5_mT6_P12ihipStream_tbENKUlT_T0_E_clISt17integral_constantIbLb1EESP_EEDaSK_SL_EUlSK_E0_NS1_11comp_targetILNS1_3genE8ELNS1_11target_archE1030ELNS1_3gpuE2ELNS1_3repE0EEENS1_30default_config_static_selectorELNS0_4arch9wavefront6targetE0EEEvT1_.has_indirect_call, 0
	.section	.AMDGPU.csdata,"",@progbits
; Kernel info:
; codeLenInByte = 0
; TotalNumSgprs: 0
; NumVgprs: 0
; ScratchSize: 0
; MemoryBound: 0
; FloatMode: 240
; IeeeMode: 1
; LDSByteSize: 0 bytes/workgroup (compile time only)
; SGPRBlocks: 0
; VGPRBlocks: 0
; NumSGPRsForWavesPerEU: 1
; NumVGPRsForWavesPerEU: 1
; NamedBarCnt: 0
; Occupancy: 16
; WaveLimiterHint : 0
; COMPUTE_PGM_RSRC2:SCRATCH_EN: 0
; COMPUTE_PGM_RSRC2:USER_SGPR: 2
; COMPUTE_PGM_RSRC2:TRAP_HANDLER: 0
; COMPUTE_PGM_RSRC2:TGID_X_EN: 1
; COMPUTE_PGM_RSRC2:TGID_Y_EN: 0
; COMPUTE_PGM_RSRC2:TGID_Z_EN: 0
; COMPUTE_PGM_RSRC2:TIDIG_COMP_CNT: 0
	.section	.text._ZN7rocprim17ROCPRIM_400000_NS6detail31init_lookback_scan_state_kernelINS1_19lookback_scan_stateIjLb1ELb1EEENS1_16block_id_wrapperIjLb0EEEEEvT_jT0_jPNS7_10value_typeE,"axG",@progbits,_ZN7rocprim17ROCPRIM_400000_NS6detail31init_lookback_scan_state_kernelINS1_19lookback_scan_stateIjLb1ELb1EEENS1_16block_id_wrapperIjLb0EEEEEvT_jT0_jPNS7_10value_typeE,comdat
	.protected	_ZN7rocprim17ROCPRIM_400000_NS6detail31init_lookback_scan_state_kernelINS1_19lookback_scan_stateIjLb1ELb1EEENS1_16block_id_wrapperIjLb0EEEEEvT_jT0_jPNS7_10value_typeE ; -- Begin function _ZN7rocprim17ROCPRIM_400000_NS6detail31init_lookback_scan_state_kernelINS1_19lookback_scan_stateIjLb1ELb1EEENS1_16block_id_wrapperIjLb0EEEEEvT_jT0_jPNS7_10value_typeE
	.globl	_ZN7rocprim17ROCPRIM_400000_NS6detail31init_lookback_scan_state_kernelINS1_19lookback_scan_stateIjLb1ELb1EEENS1_16block_id_wrapperIjLb0EEEEEvT_jT0_jPNS7_10value_typeE
	.p2align	8
	.type	_ZN7rocprim17ROCPRIM_400000_NS6detail31init_lookback_scan_state_kernelINS1_19lookback_scan_stateIjLb1ELb1EEENS1_16block_id_wrapperIjLb0EEEEEvT_jT0_jPNS7_10value_typeE,@function
_ZN7rocprim17ROCPRIM_400000_NS6detail31init_lookback_scan_state_kernelINS1_19lookback_scan_stateIjLb1ELb1EEENS1_16block_id_wrapperIjLb0EEEEEvT_jT0_jPNS7_10value_typeE: ; @_ZN7rocprim17ROCPRIM_400000_NS6detail31init_lookback_scan_state_kernelINS1_19lookback_scan_stateIjLb1ELb1EEENS1_16block_id_wrapperIjLb0EEEEEvT_jT0_jPNS7_10value_typeE
; %bb.0:
	s_clause 0x2
	s_load_b32 s7, s[0:1], 0x2c
	s_load_b96 s[4:6], s[0:1], 0x0
	s_load_b64 s[2:3], s[0:1], 0x18
	s_bfe_u32 s8, ttmp6, 0x4000c
	s_and_b32 s9, ttmp6, 15
	s_add_co_i32 s8, s8, 1
	s_getreg_b32 s10, hwreg(HW_REG_IB_STS2, 6, 4)
	s_mul_i32 s8, ttmp9, s8
	s_delay_alu instid0(SALU_CYCLE_1)
	s_add_co_i32 s9, s9, s8
	s_wait_kmcnt 0x0
	s_and_b32 s7, s7, 0xffff
	s_cmp_eq_u32 s10, 0
	s_cselect_b32 s8, ttmp9, s9
	s_cmp_eq_u64 s[2:3], 0
	v_mad_u32 v4, s8, s7, v0
	s_cbranch_scc1 .LBB47_9
; %bb.1:
	s_load_b32 s0, s[0:1], 0x10
	s_mov_b32 s7, exec_lo
	s_wait_kmcnt 0x0
	s_cmp_lt_u32 s0, s6
	s_cselect_b32 s1, s0, 0
	s_delay_alu instid0(VALU_DEP_1) | instid1(SALU_CYCLE_1)
	v_cmpx_eq_u32_e64 s1, v4
	s_cbranch_execz .LBB47_8
; %bb.2:
	s_add_co_i32 s0, s0, 32
	s_delay_alu instid0(SALU_CYCLE_1)
	v_mov_b32_e32 v0, s0
	global_load_b64 v[2:3], v0, s[4:5] scale_offset scope:SCOPE_DEV
	s_wait_xcnt 0x0
	v_mov_b32_e32 v0, 0
	s_wait_loadcnt 0x0
	v_and_b32_e32 v1, 0xff, v3
	s_delay_alu instid0(VALU_DEP_1)
	v_cmp_ne_u64_e32 vcc_lo, 0, v[0:1]
	s_cbranch_vccnz .LBB47_7
; %bb.3:
	s_mov_b32 s1, 0
	s_mov_b32 s8, 1
	s_lshl_b64 s[0:1], s[0:1], 3
	s_delay_alu instid0(SALU_CYCLE_1)
	s_add_nc_u64 s[0:1], s[4:5], s[0:1]
.LBB47_4:                               ; =>This Loop Header: Depth=1
                                        ;     Child Loop BB47_5 Depth 2
	s_mov_b32 s9, s8
.LBB47_5:                               ;   Parent Loop BB47_4 Depth=1
                                        ; =>  This Inner Loop Header: Depth=2
	s_delay_alu instid0(SALU_CYCLE_1)
	s_add_co_i32 s9, s9, -1
	s_sleep 1
	s_cmp_eq_u32 s9, 0
	s_cbranch_scc0 .LBB47_5
; %bb.6:                                ;   in Loop: Header=BB47_4 Depth=1
	global_load_b64 v[2:3], v0, s[0:1] scope:SCOPE_DEV
	s_cmp_lt_u32 s8, 32
	s_cselect_b32 s9, -1, 0
	s_delay_alu instid0(SALU_CYCLE_1) | instskip(SKIP_3) | instid1(VALU_DEP_1)
	s_cmp_lg_u32 s9, 0
	s_add_co_ci_u32 s8, s8, 0
	s_wait_loadcnt 0x0
	v_and_b32_e32 v1, 0xff, v3
	v_cmp_ne_u64_e32 vcc_lo, 0, v[0:1]
	s_cbranch_vccz .LBB47_4
.LBB47_7:
	v_mov_b32_e32 v0, 0
	global_store_b32 v0, v2, s[2:3]
.LBB47_8:
	s_wait_xcnt 0x0
	s_or_b32 exec_lo, exec_lo, s7
.LBB47_9:
	s_delay_alu instid0(SALU_CYCLE_1) | instskip(NEXT) | instid1(VALU_DEP_1)
	s_mov_b32 s0, exec_lo
	v_cmpx_gt_u32_e64 s6, v4
	s_cbranch_execz .LBB47_11
; %bb.10:
	v_mov_b64_e32 v[0:1], 0
	v_add_nc_u32_e32 v2, 32, v4
	global_store_b64 v2, v[0:1], s[4:5] scale_offset
.LBB47_11:
	s_wait_xcnt 0x0
	s_or_b32 exec_lo, exec_lo, s0
	s_delay_alu instid0(SALU_CYCLE_1)
	s_mov_b32 s0, exec_lo
	v_cmpx_gt_u32_e32 32, v4
	s_cbranch_execz .LBB47_13
; %bb.12:
	v_mov_b64_e32 v[0:1], 0xff00000000
	global_store_b64 v4, v[0:1], s[4:5] scale_offset
.LBB47_13:
	s_endpgm
	.section	.rodata,"a",@progbits
	.p2align	6, 0x0
	.amdhsa_kernel _ZN7rocprim17ROCPRIM_400000_NS6detail31init_lookback_scan_state_kernelINS1_19lookback_scan_stateIjLb1ELb1EEENS1_16block_id_wrapperIjLb0EEEEEvT_jT0_jPNS7_10value_typeE
		.amdhsa_group_segment_fixed_size 0
		.amdhsa_private_segment_fixed_size 0
		.amdhsa_kernarg_size 288
		.amdhsa_user_sgpr_count 2
		.amdhsa_user_sgpr_dispatch_ptr 0
		.amdhsa_user_sgpr_queue_ptr 0
		.amdhsa_user_sgpr_kernarg_segment_ptr 1
		.amdhsa_user_sgpr_dispatch_id 0
		.amdhsa_user_sgpr_kernarg_preload_length 0
		.amdhsa_user_sgpr_kernarg_preload_offset 0
		.amdhsa_user_sgpr_private_segment_size 0
		.amdhsa_wavefront_size32 1
		.amdhsa_uses_dynamic_stack 0
		.amdhsa_enable_private_segment 0
		.amdhsa_system_sgpr_workgroup_id_x 1
		.amdhsa_system_sgpr_workgroup_id_y 0
		.amdhsa_system_sgpr_workgroup_id_z 0
		.amdhsa_system_sgpr_workgroup_info 0
		.amdhsa_system_vgpr_workitem_id 0
		.amdhsa_next_free_vgpr 5
		.amdhsa_next_free_sgpr 11
		.amdhsa_named_barrier_count 0
		.amdhsa_reserve_vcc 1
		.amdhsa_float_round_mode_32 0
		.amdhsa_float_round_mode_16_64 0
		.amdhsa_float_denorm_mode_32 3
		.amdhsa_float_denorm_mode_16_64 3
		.amdhsa_fp16_overflow 0
		.amdhsa_memory_ordered 1
		.amdhsa_forward_progress 1
		.amdhsa_inst_pref_size 4
		.amdhsa_round_robin_scheduling 0
		.amdhsa_exception_fp_ieee_invalid_op 0
		.amdhsa_exception_fp_denorm_src 0
		.amdhsa_exception_fp_ieee_div_zero 0
		.amdhsa_exception_fp_ieee_overflow 0
		.amdhsa_exception_fp_ieee_underflow 0
		.amdhsa_exception_fp_ieee_inexact 0
		.amdhsa_exception_int_div_zero 0
	.end_amdhsa_kernel
	.section	.text._ZN7rocprim17ROCPRIM_400000_NS6detail31init_lookback_scan_state_kernelINS1_19lookback_scan_stateIjLb1ELb1EEENS1_16block_id_wrapperIjLb0EEEEEvT_jT0_jPNS7_10value_typeE,"axG",@progbits,_ZN7rocprim17ROCPRIM_400000_NS6detail31init_lookback_scan_state_kernelINS1_19lookback_scan_stateIjLb1ELb1EEENS1_16block_id_wrapperIjLb0EEEEEvT_jT0_jPNS7_10value_typeE,comdat
.Lfunc_end47:
	.size	_ZN7rocprim17ROCPRIM_400000_NS6detail31init_lookback_scan_state_kernelINS1_19lookback_scan_stateIjLb1ELb1EEENS1_16block_id_wrapperIjLb0EEEEEvT_jT0_jPNS7_10value_typeE, .Lfunc_end47-_ZN7rocprim17ROCPRIM_400000_NS6detail31init_lookback_scan_state_kernelINS1_19lookback_scan_stateIjLb1ELb1EEENS1_16block_id_wrapperIjLb0EEEEEvT_jT0_jPNS7_10value_typeE
                                        ; -- End function
	.set _ZN7rocprim17ROCPRIM_400000_NS6detail31init_lookback_scan_state_kernelINS1_19lookback_scan_stateIjLb1ELb1EEENS1_16block_id_wrapperIjLb0EEEEEvT_jT0_jPNS7_10value_typeE.num_vgpr, 5
	.set _ZN7rocprim17ROCPRIM_400000_NS6detail31init_lookback_scan_state_kernelINS1_19lookback_scan_stateIjLb1ELb1EEENS1_16block_id_wrapperIjLb0EEEEEvT_jT0_jPNS7_10value_typeE.num_agpr, 0
	.set _ZN7rocprim17ROCPRIM_400000_NS6detail31init_lookback_scan_state_kernelINS1_19lookback_scan_stateIjLb1ELb1EEENS1_16block_id_wrapperIjLb0EEEEEvT_jT0_jPNS7_10value_typeE.numbered_sgpr, 11
	.set _ZN7rocprim17ROCPRIM_400000_NS6detail31init_lookback_scan_state_kernelINS1_19lookback_scan_stateIjLb1ELb1EEENS1_16block_id_wrapperIjLb0EEEEEvT_jT0_jPNS7_10value_typeE.num_named_barrier, 0
	.set _ZN7rocprim17ROCPRIM_400000_NS6detail31init_lookback_scan_state_kernelINS1_19lookback_scan_stateIjLb1ELb1EEENS1_16block_id_wrapperIjLb0EEEEEvT_jT0_jPNS7_10value_typeE.private_seg_size, 0
	.set _ZN7rocprim17ROCPRIM_400000_NS6detail31init_lookback_scan_state_kernelINS1_19lookback_scan_stateIjLb1ELb1EEENS1_16block_id_wrapperIjLb0EEEEEvT_jT0_jPNS7_10value_typeE.uses_vcc, 1
	.set _ZN7rocprim17ROCPRIM_400000_NS6detail31init_lookback_scan_state_kernelINS1_19lookback_scan_stateIjLb1ELb1EEENS1_16block_id_wrapperIjLb0EEEEEvT_jT0_jPNS7_10value_typeE.uses_flat_scratch, 0
	.set _ZN7rocprim17ROCPRIM_400000_NS6detail31init_lookback_scan_state_kernelINS1_19lookback_scan_stateIjLb1ELb1EEENS1_16block_id_wrapperIjLb0EEEEEvT_jT0_jPNS7_10value_typeE.has_dyn_sized_stack, 0
	.set _ZN7rocprim17ROCPRIM_400000_NS6detail31init_lookback_scan_state_kernelINS1_19lookback_scan_stateIjLb1ELb1EEENS1_16block_id_wrapperIjLb0EEEEEvT_jT0_jPNS7_10value_typeE.has_recursion, 0
	.set _ZN7rocprim17ROCPRIM_400000_NS6detail31init_lookback_scan_state_kernelINS1_19lookback_scan_stateIjLb1ELb1EEENS1_16block_id_wrapperIjLb0EEEEEvT_jT0_jPNS7_10value_typeE.has_indirect_call, 0
	.section	.AMDGPU.csdata,"",@progbits
; Kernel info:
; codeLenInByte = 404
; TotalNumSgprs: 13
; NumVgprs: 5
; ScratchSize: 0
; MemoryBound: 0
; FloatMode: 240
; IeeeMode: 1
; LDSByteSize: 0 bytes/workgroup (compile time only)
; SGPRBlocks: 0
; VGPRBlocks: 0
; NumSGPRsForWavesPerEU: 13
; NumVGPRsForWavesPerEU: 5
; NamedBarCnt: 0
; Occupancy: 16
; WaveLimiterHint : 0
; COMPUTE_PGM_RSRC2:SCRATCH_EN: 0
; COMPUTE_PGM_RSRC2:USER_SGPR: 2
; COMPUTE_PGM_RSRC2:TRAP_HANDLER: 0
; COMPUTE_PGM_RSRC2:TGID_X_EN: 1
; COMPUTE_PGM_RSRC2:TGID_Y_EN: 0
; COMPUTE_PGM_RSRC2:TGID_Z_EN: 0
; COMPUTE_PGM_RSRC2:TIDIG_COMP_CNT: 0
	.section	.text._ZN7rocprim17ROCPRIM_400000_NS6detail17trampoline_kernelINS0_14default_configENS1_20scan_config_selectorIjEEZZNS1_9scan_implILNS1_25lookback_scan_determinismE0ELb1ELb1ES3_PjS8_jN6hipcub16HIPCUB_304000_NS3SumEjEEDaPvRmT3_T4_T5_mT6_P12ihipStream_tbENKUlT_T0_E_clISt17integral_constantIbLb1EESO_IbLb0EEEEDaSK_SL_EUlSK_E_NS1_11comp_targetILNS1_3genE0ELNS1_11target_archE4294967295ELNS1_3gpuE0ELNS1_3repE0EEENS1_30default_config_static_selectorELNS0_4arch9wavefront6targetE0EEEvT1_,"axG",@progbits,_ZN7rocprim17ROCPRIM_400000_NS6detail17trampoline_kernelINS0_14default_configENS1_20scan_config_selectorIjEEZZNS1_9scan_implILNS1_25lookback_scan_determinismE0ELb1ELb1ES3_PjS8_jN6hipcub16HIPCUB_304000_NS3SumEjEEDaPvRmT3_T4_T5_mT6_P12ihipStream_tbENKUlT_T0_E_clISt17integral_constantIbLb1EESO_IbLb0EEEEDaSK_SL_EUlSK_E_NS1_11comp_targetILNS1_3genE0ELNS1_11target_archE4294967295ELNS1_3gpuE0ELNS1_3repE0EEENS1_30default_config_static_selectorELNS0_4arch9wavefront6targetE0EEEvT1_,comdat
	.protected	_ZN7rocprim17ROCPRIM_400000_NS6detail17trampoline_kernelINS0_14default_configENS1_20scan_config_selectorIjEEZZNS1_9scan_implILNS1_25lookback_scan_determinismE0ELb1ELb1ES3_PjS8_jN6hipcub16HIPCUB_304000_NS3SumEjEEDaPvRmT3_T4_T5_mT6_P12ihipStream_tbENKUlT_T0_E_clISt17integral_constantIbLb1EESO_IbLb0EEEEDaSK_SL_EUlSK_E_NS1_11comp_targetILNS1_3genE0ELNS1_11target_archE4294967295ELNS1_3gpuE0ELNS1_3repE0EEENS1_30default_config_static_selectorELNS0_4arch9wavefront6targetE0EEEvT1_ ; -- Begin function _ZN7rocprim17ROCPRIM_400000_NS6detail17trampoline_kernelINS0_14default_configENS1_20scan_config_selectorIjEEZZNS1_9scan_implILNS1_25lookback_scan_determinismE0ELb1ELb1ES3_PjS8_jN6hipcub16HIPCUB_304000_NS3SumEjEEDaPvRmT3_T4_T5_mT6_P12ihipStream_tbENKUlT_T0_E_clISt17integral_constantIbLb1EESO_IbLb0EEEEDaSK_SL_EUlSK_E_NS1_11comp_targetILNS1_3genE0ELNS1_11target_archE4294967295ELNS1_3gpuE0ELNS1_3repE0EEENS1_30default_config_static_selectorELNS0_4arch9wavefront6targetE0EEEvT1_
	.globl	_ZN7rocprim17ROCPRIM_400000_NS6detail17trampoline_kernelINS0_14default_configENS1_20scan_config_selectorIjEEZZNS1_9scan_implILNS1_25lookback_scan_determinismE0ELb1ELb1ES3_PjS8_jN6hipcub16HIPCUB_304000_NS3SumEjEEDaPvRmT3_T4_T5_mT6_P12ihipStream_tbENKUlT_T0_E_clISt17integral_constantIbLb1EESO_IbLb0EEEEDaSK_SL_EUlSK_E_NS1_11comp_targetILNS1_3genE0ELNS1_11target_archE4294967295ELNS1_3gpuE0ELNS1_3repE0EEENS1_30default_config_static_selectorELNS0_4arch9wavefront6targetE0EEEvT1_
	.p2align	8
	.type	_ZN7rocprim17ROCPRIM_400000_NS6detail17trampoline_kernelINS0_14default_configENS1_20scan_config_selectorIjEEZZNS1_9scan_implILNS1_25lookback_scan_determinismE0ELb1ELb1ES3_PjS8_jN6hipcub16HIPCUB_304000_NS3SumEjEEDaPvRmT3_T4_T5_mT6_P12ihipStream_tbENKUlT_T0_E_clISt17integral_constantIbLb1EESO_IbLb0EEEEDaSK_SL_EUlSK_E_NS1_11comp_targetILNS1_3genE0ELNS1_11target_archE4294967295ELNS1_3gpuE0ELNS1_3repE0EEENS1_30default_config_static_selectorELNS0_4arch9wavefront6targetE0EEEvT1_,@function
_ZN7rocprim17ROCPRIM_400000_NS6detail17trampoline_kernelINS0_14default_configENS1_20scan_config_selectorIjEEZZNS1_9scan_implILNS1_25lookback_scan_determinismE0ELb1ELb1ES3_PjS8_jN6hipcub16HIPCUB_304000_NS3SumEjEEDaPvRmT3_T4_T5_mT6_P12ihipStream_tbENKUlT_T0_E_clISt17integral_constantIbLb1EESO_IbLb0EEEEDaSK_SL_EUlSK_E_NS1_11comp_targetILNS1_3genE0ELNS1_11target_archE4294967295ELNS1_3gpuE0ELNS1_3repE0EEENS1_30default_config_static_selectorELNS0_4arch9wavefront6targetE0EEEvT1_: ; @_ZN7rocprim17ROCPRIM_400000_NS6detail17trampoline_kernelINS0_14default_configENS1_20scan_config_selectorIjEEZZNS1_9scan_implILNS1_25lookback_scan_determinismE0ELb1ELb1ES3_PjS8_jN6hipcub16HIPCUB_304000_NS3SumEjEEDaPvRmT3_T4_T5_mT6_P12ihipStream_tbENKUlT_T0_E_clISt17integral_constantIbLb1EESO_IbLb0EEEEDaSK_SL_EUlSK_E_NS1_11comp_targetILNS1_3genE0ELNS1_11target_archE4294967295ELNS1_3gpuE0ELNS1_3repE0EEENS1_30default_config_static_selectorELNS0_4arch9wavefront6targetE0EEEvT1_
; %bb.0:
	s_endpgm
	.section	.rodata,"a",@progbits
	.p2align	6, 0x0
	.amdhsa_kernel _ZN7rocprim17ROCPRIM_400000_NS6detail17trampoline_kernelINS0_14default_configENS1_20scan_config_selectorIjEEZZNS1_9scan_implILNS1_25lookback_scan_determinismE0ELb1ELb1ES3_PjS8_jN6hipcub16HIPCUB_304000_NS3SumEjEEDaPvRmT3_T4_T5_mT6_P12ihipStream_tbENKUlT_T0_E_clISt17integral_constantIbLb1EESO_IbLb0EEEEDaSK_SL_EUlSK_E_NS1_11comp_targetILNS1_3genE0ELNS1_11target_archE4294967295ELNS1_3gpuE0ELNS1_3repE0EEENS1_30default_config_static_selectorELNS0_4arch9wavefront6targetE0EEEvT1_
		.amdhsa_group_segment_fixed_size 0
		.amdhsa_private_segment_fixed_size 0
		.amdhsa_kernarg_size 96
		.amdhsa_user_sgpr_count 2
		.amdhsa_user_sgpr_dispatch_ptr 0
		.amdhsa_user_sgpr_queue_ptr 0
		.amdhsa_user_sgpr_kernarg_segment_ptr 1
		.amdhsa_user_sgpr_dispatch_id 0
		.amdhsa_user_sgpr_kernarg_preload_length 0
		.amdhsa_user_sgpr_kernarg_preload_offset 0
		.amdhsa_user_sgpr_private_segment_size 0
		.amdhsa_wavefront_size32 1
		.amdhsa_uses_dynamic_stack 0
		.amdhsa_enable_private_segment 0
		.amdhsa_system_sgpr_workgroup_id_x 1
		.amdhsa_system_sgpr_workgroup_id_y 0
		.amdhsa_system_sgpr_workgroup_id_z 0
		.amdhsa_system_sgpr_workgroup_info 0
		.amdhsa_system_vgpr_workitem_id 0
		.amdhsa_next_free_vgpr 1
		.amdhsa_next_free_sgpr 1
		.amdhsa_named_barrier_count 0
		.amdhsa_reserve_vcc 0
		.amdhsa_float_round_mode_32 0
		.amdhsa_float_round_mode_16_64 0
		.amdhsa_float_denorm_mode_32 3
		.amdhsa_float_denorm_mode_16_64 3
		.amdhsa_fp16_overflow 0
		.amdhsa_memory_ordered 1
		.amdhsa_forward_progress 1
		.amdhsa_inst_pref_size 1
		.amdhsa_round_robin_scheduling 0
		.amdhsa_exception_fp_ieee_invalid_op 0
		.amdhsa_exception_fp_denorm_src 0
		.amdhsa_exception_fp_ieee_div_zero 0
		.amdhsa_exception_fp_ieee_overflow 0
		.amdhsa_exception_fp_ieee_underflow 0
		.amdhsa_exception_fp_ieee_inexact 0
		.amdhsa_exception_int_div_zero 0
	.end_amdhsa_kernel
	.section	.text._ZN7rocprim17ROCPRIM_400000_NS6detail17trampoline_kernelINS0_14default_configENS1_20scan_config_selectorIjEEZZNS1_9scan_implILNS1_25lookback_scan_determinismE0ELb1ELb1ES3_PjS8_jN6hipcub16HIPCUB_304000_NS3SumEjEEDaPvRmT3_T4_T5_mT6_P12ihipStream_tbENKUlT_T0_E_clISt17integral_constantIbLb1EESO_IbLb0EEEEDaSK_SL_EUlSK_E_NS1_11comp_targetILNS1_3genE0ELNS1_11target_archE4294967295ELNS1_3gpuE0ELNS1_3repE0EEENS1_30default_config_static_selectorELNS0_4arch9wavefront6targetE0EEEvT1_,"axG",@progbits,_ZN7rocprim17ROCPRIM_400000_NS6detail17trampoline_kernelINS0_14default_configENS1_20scan_config_selectorIjEEZZNS1_9scan_implILNS1_25lookback_scan_determinismE0ELb1ELb1ES3_PjS8_jN6hipcub16HIPCUB_304000_NS3SumEjEEDaPvRmT3_T4_T5_mT6_P12ihipStream_tbENKUlT_T0_E_clISt17integral_constantIbLb1EESO_IbLb0EEEEDaSK_SL_EUlSK_E_NS1_11comp_targetILNS1_3genE0ELNS1_11target_archE4294967295ELNS1_3gpuE0ELNS1_3repE0EEENS1_30default_config_static_selectorELNS0_4arch9wavefront6targetE0EEEvT1_,comdat
.Lfunc_end48:
	.size	_ZN7rocprim17ROCPRIM_400000_NS6detail17trampoline_kernelINS0_14default_configENS1_20scan_config_selectorIjEEZZNS1_9scan_implILNS1_25lookback_scan_determinismE0ELb1ELb1ES3_PjS8_jN6hipcub16HIPCUB_304000_NS3SumEjEEDaPvRmT3_T4_T5_mT6_P12ihipStream_tbENKUlT_T0_E_clISt17integral_constantIbLb1EESO_IbLb0EEEEDaSK_SL_EUlSK_E_NS1_11comp_targetILNS1_3genE0ELNS1_11target_archE4294967295ELNS1_3gpuE0ELNS1_3repE0EEENS1_30default_config_static_selectorELNS0_4arch9wavefront6targetE0EEEvT1_, .Lfunc_end48-_ZN7rocprim17ROCPRIM_400000_NS6detail17trampoline_kernelINS0_14default_configENS1_20scan_config_selectorIjEEZZNS1_9scan_implILNS1_25lookback_scan_determinismE0ELb1ELb1ES3_PjS8_jN6hipcub16HIPCUB_304000_NS3SumEjEEDaPvRmT3_T4_T5_mT6_P12ihipStream_tbENKUlT_T0_E_clISt17integral_constantIbLb1EESO_IbLb0EEEEDaSK_SL_EUlSK_E_NS1_11comp_targetILNS1_3genE0ELNS1_11target_archE4294967295ELNS1_3gpuE0ELNS1_3repE0EEENS1_30default_config_static_selectorELNS0_4arch9wavefront6targetE0EEEvT1_
                                        ; -- End function
	.set _ZN7rocprim17ROCPRIM_400000_NS6detail17trampoline_kernelINS0_14default_configENS1_20scan_config_selectorIjEEZZNS1_9scan_implILNS1_25lookback_scan_determinismE0ELb1ELb1ES3_PjS8_jN6hipcub16HIPCUB_304000_NS3SumEjEEDaPvRmT3_T4_T5_mT6_P12ihipStream_tbENKUlT_T0_E_clISt17integral_constantIbLb1EESO_IbLb0EEEEDaSK_SL_EUlSK_E_NS1_11comp_targetILNS1_3genE0ELNS1_11target_archE4294967295ELNS1_3gpuE0ELNS1_3repE0EEENS1_30default_config_static_selectorELNS0_4arch9wavefront6targetE0EEEvT1_.num_vgpr, 0
	.set _ZN7rocprim17ROCPRIM_400000_NS6detail17trampoline_kernelINS0_14default_configENS1_20scan_config_selectorIjEEZZNS1_9scan_implILNS1_25lookback_scan_determinismE0ELb1ELb1ES3_PjS8_jN6hipcub16HIPCUB_304000_NS3SumEjEEDaPvRmT3_T4_T5_mT6_P12ihipStream_tbENKUlT_T0_E_clISt17integral_constantIbLb1EESO_IbLb0EEEEDaSK_SL_EUlSK_E_NS1_11comp_targetILNS1_3genE0ELNS1_11target_archE4294967295ELNS1_3gpuE0ELNS1_3repE0EEENS1_30default_config_static_selectorELNS0_4arch9wavefront6targetE0EEEvT1_.num_agpr, 0
	.set _ZN7rocprim17ROCPRIM_400000_NS6detail17trampoline_kernelINS0_14default_configENS1_20scan_config_selectorIjEEZZNS1_9scan_implILNS1_25lookback_scan_determinismE0ELb1ELb1ES3_PjS8_jN6hipcub16HIPCUB_304000_NS3SumEjEEDaPvRmT3_T4_T5_mT6_P12ihipStream_tbENKUlT_T0_E_clISt17integral_constantIbLb1EESO_IbLb0EEEEDaSK_SL_EUlSK_E_NS1_11comp_targetILNS1_3genE0ELNS1_11target_archE4294967295ELNS1_3gpuE0ELNS1_3repE0EEENS1_30default_config_static_selectorELNS0_4arch9wavefront6targetE0EEEvT1_.numbered_sgpr, 0
	.set _ZN7rocprim17ROCPRIM_400000_NS6detail17trampoline_kernelINS0_14default_configENS1_20scan_config_selectorIjEEZZNS1_9scan_implILNS1_25lookback_scan_determinismE0ELb1ELb1ES3_PjS8_jN6hipcub16HIPCUB_304000_NS3SumEjEEDaPvRmT3_T4_T5_mT6_P12ihipStream_tbENKUlT_T0_E_clISt17integral_constantIbLb1EESO_IbLb0EEEEDaSK_SL_EUlSK_E_NS1_11comp_targetILNS1_3genE0ELNS1_11target_archE4294967295ELNS1_3gpuE0ELNS1_3repE0EEENS1_30default_config_static_selectorELNS0_4arch9wavefront6targetE0EEEvT1_.num_named_barrier, 0
	.set _ZN7rocprim17ROCPRIM_400000_NS6detail17trampoline_kernelINS0_14default_configENS1_20scan_config_selectorIjEEZZNS1_9scan_implILNS1_25lookback_scan_determinismE0ELb1ELb1ES3_PjS8_jN6hipcub16HIPCUB_304000_NS3SumEjEEDaPvRmT3_T4_T5_mT6_P12ihipStream_tbENKUlT_T0_E_clISt17integral_constantIbLb1EESO_IbLb0EEEEDaSK_SL_EUlSK_E_NS1_11comp_targetILNS1_3genE0ELNS1_11target_archE4294967295ELNS1_3gpuE0ELNS1_3repE0EEENS1_30default_config_static_selectorELNS0_4arch9wavefront6targetE0EEEvT1_.private_seg_size, 0
	.set _ZN7rocprim17ROCPRIM_400000_NS6detail17trampoline_kernelINS0_14default_configENS1_20scan_config_selectorIjEEZZNS1_9scan_implILNS1_25lookback_scan_determinismE0ELb1ELb1ES3_PjS8_jN6hipcub16HIPCUB_304000_NS3SumEjEEDaPvRmT3_T4_T5_mT6_P12ihipStream_tbENKUlT_T0_E_clISt17integral_constantIbLb1EESO_IbLb0EEEEDaSK_SL_EUlSK_E_NS1_11comp_targetILNS1_3genE0ELNS1_11target_archE4294967295ELNS1_3gpuE0ELNS1_3repE0EEENS1_30default_config_static_selectorELNS0_4arch9wavefront6targetE0EEEvT1_.uses_vcc, 0
	.set _ZN7rocprim17ROCPRIM_400000_NS6detail17trampoline_kernelINS0_14default_configENS1_20scan_config_selectorIjEEZZNS1_9scan_implILNS1_25lookback_scan_determinismE0ELb1ELb1ES3_PjS8_jN6hipcub16HIPCUB_304000_NS3SumEjEEDaPvRmT3_T4_T5_mT6_P12ihipStream_tbENKUlT_T0_E_clISt17integral_constantIbLb1EESO_IbLb0EEEEDaSK_SL_EUlSK_E_NS1_11comp_targetILNS1_3genE0ELNS1_11target_archE4294967295ELNS1_3gpuE0ELNS1_3repE0EEENS1_30default_config_static_selectorELNS0_4arch9wavefront6targetE0EEEvT1_.uses_flat_scratch, 0
	.set _ZN7rocprim17ROCPRIM_400000_NS6detail17trampoline_kernelINS0_14default_configENS1_20scan_config_selectorIjEEZZNS1_9scan_implILNS1_25lookback_scan_determinismE0ELb1ELb1ES3_PjS8_jN6hipcub16HIPCUB_304000_NS3SumEjEEDaPvRmT3_T4_T5_mT6_P12ihipStream_tbENKUlT_T0_E_clISt17integral_constantIbLb1EESO_IbLb0EEEEDaSK_SL_EUlSK_E_NS1_11comp_targetILNS1_3genE0ELNS1_11target_archE4294967295ELNS1_3gpuE0ELNS1_3repE0EEENS1_30default_config_static_selectorELNS0_4arch9wavefront6targetE0EEEvT1_.has_dyn_sized_stack, 0
	.set _ZN7rocprim17ROCPRIM_400000_NS6detail17trampoline_kernelINS0_14default_configENS1_20scan_config_selectorIjEEZZNS1_9scan_implILNS1_25lookback_scan_determinismE0ELb1ELb1ES3_PjS8_jN6hipcub16HIPCUB_304000_NS3SumEjEEDaPvRmT3_T4_T5_mT6_P12ihipStream_tbENKUlT_T0_E_clISt17integral_constantIbLb1EESO_IbLb0EEEEDaSK_SL_EUlSK_E_NS1_11comp_targetILNS1_3genE0ELNS1_11target_archE4294967295ELNS1_3gpuE0ELNS1_3repE0EEENS1_30default_config_static_selectorELNS0_4arch9wavefront6targetE0EEEvT1_.has_recursion, 0
	.set _ZN7rocprim17ROCPRIM_400000_NS6detail17trampoline_kernelINS0_14default_configENS1_20scan_config_selectorIjEEZZNS1_9scan_implILNS1_25lookback_scan_determinismE0ELb1ELb1ES3_PjS8_jN6hipcub16HIPCUB_304000_NS3SumEjEEDaPvRmT3_T4_T5_mT6_P12ihipStream_tbENKUlT_T0_E_clISt17integral_constantIbLb1EESO_IbLb0EEEEDaSK_SL_EUlSK_E_NS1_11comp_targetILNS1_3genE0ELNS1_11target_archE4294967295ELNS1_3gpuE0ELNS1_3repE0EEENS1_30default_config_static_selectorELNS0_4arch9wavefront6targetE0EEEvT1_.has_indirect_call, 0
	.section	.AMDGPU.csdata,"",@progbits
; Kernel info:
; codeLenInByte = 4
; TotalNumSgprs: 0
; NumVgprs: 0
; ScratchSize: 0
; MemoryBound: 0
; FloatMode: 240
; IeeeMode: 1
; LDSByteSize: 0 bytes/workgroup (compile time only)
; SGPRBlocks: 0
; VGPRBlocks: 0
; NumSGPRsForWavesPerEU: 1
; NumVGPRsForWavesPerEU: 1
; NamedBarCnt: 0
; Occupancy: 16
; WaveLimiterHint : 0
; COMPUTE_PGM_RSRC2:SCRATCH_EN: 0
; COMPUTE_PGM_RSRC2:USER_SGPR: 2
; COMPUTE_PGM_RSRC2:TRAP_HANDLER: 0
; COMPUTE_PGM_RSRC2:TGID_X_EN: 1
; COMPUTE_PGM_RSRC2:TGID_Y_EN: 0
; COMPUTE_PGM_RSRC2:TGID_Z_EN: 0
; COMPUTE_PGM_RSRC2:TIDIG_COMP_CNT: 0
	.section	.text._ZN7rocprim17ROCPRIM_400000_NS6detail17trampoline_kernelINS0_14default_configENS1_20scan_config_selectorIjEEZZNS1_9scan_implILNS1_25lookback_scan_determinismE0ELb1ELb1ES3_PjS8_jN6hipcub16HIPCUB_304000_NS3SumEjEEDaPvRmT3_T4_T5_mT6_P12ihipStream_tbENKUlT_T0_E_clISt17integral_constantIbLb1EESO_IbLb0EEEEDaSK_SL_EUlSK_E_NS1_11comp_targetILNS1_3genE5ELNS1_11target_archE942ELNS1_3gpuE9ELNS1_3repE0EEENS1_30default_config_static_selectorELNS0_4arch9wavefront6targetE0EEEvT1_,"axG",@progbits,_ZN7rocprim17ROCPRIM_400000_NS6detail17trampoline_kernelINS0_14default_configENS1_20scan_config_selectorIjEEZZNS1_9scan_implILNS1_25lookback_scan_determinismE0ELb1ELb1ES3_PjS8_jN6hipcub16HIPCUB_304000_NS3SumEjEEDaPvRmT3_T4_T5_mT6_P12ihipStream_tbENKUlT_T0_E_clISt17integral_constantIbLb1EESO_IbLb0EEEEDaSK_SL_EUlSK_E_NS1_11comp_targetILNS1_3genE5ELNS1_11target_archE942ELNS1_3gpuE9ELNS1_3repE0EEENS1_30default_config_static_selectorELNS0_4arch9wavefront6targetE0EEEvT1_,comdat
	.protected	_ZN7rocprim17ROCPRIM_400000_NS6detail17trampoline_kernelINS0_14default_configENS1_20scan_config_selectorIjEEZZNS1_9scan_implILNS1_25lookback_scan_determinismE0ELb1ELb1ES3_PjS8_jN6hipcub16HIPCUB_304000_NS3SumEjEEDaPvRmT3_T4_T5_mT6_P12ihipStream_tbENKUlT_T0_E_clISt17integral_constantIbLb1EESO_IbLb0EEEEDaSK_SL_EUlSK_E_NS1_11comp_targetILNS1_3genE5ELNS1_11target_archE942ELNS1_3gpuE9ELNS1_3repE0EEENS1_30default_config_static_selectorELNS0_4arch9wavefront6targetE0EEEvT1_ ; -- Begin function _ZN7rocprim17ROCPRIM_400000_NS6detail17trampoline_kernelINS0_14default_configENS1_20scan_config_selectorIjEEZZNS1_9scan_implILNS1_25lookback_scan_determinismE0ELb1ELb1ES3_PjS8_jN6hipcub16HIPCUB_304000_NS3SumEjEEDaPvRmT3_T4_T5_mT6_P12ihipStream_tbENKUlT_T0_E_clISt17integral_constantIbLb1EESO_IbLb0EEEEDaSK_SL_EUlSK_E_NS1_11comp_targetILNS1_3genE5ELNS1_11target_archE942ELNS1_3gpuE9ELNS1_3repE0EEENS1_30default_config_static_selectorELNS0_4arch9wavefront6targetE0EEEvT1_
	.globl	_ZN7rocprim17ROCPRIM_400000_NS6detail17trampoline_kernelINS0_14default_configENS1_20scan_config_selectorIjEEZZNS1_9scan_implILNS1_25lookback_scan_determinismE0ELb1ELb1ES3_PjS8_jN6hipcub16HIPCUB_304000_NS3SumEjEEDaPvRmT3_T4_T5_mT6_P12ihipStream_tbENKUlT_T0_E_clISt17integral_constantIbLb1EESO_IbLb0EEEEDaSK_SL_EUlSK_E_NS1_11comp_targetILNS1_3genE5ELNS1_11target_archE942ELNS1_3gpuE9ELNS1_3repE0EEENS1_30default_config_static_selectorELNS0_4arch9wavefront6targetE0EEEvT1_
	.p2align	8
	.type	_ZN7rocprim17ROCPRIM_400000_NS6detail17trampoline_kernelINS0_14default_configENS1_20scan_config_selectorIjEEZZNS1_9scan_implILNS1_25lookback_scan_determinismE0ELb1ELb1ES3_PjS8_jN6hipcub16HIPCUB_304000_NS3SumEjEEDaPvRmT3_T4_T5_mT6_P12ihipStream_tbENKUlT_T0_E_clISt17integral_constantIbLb1EESO_IbLb0EEEEDaSK_SL_EUlSK_E_NS1_11comp_targetILNS1_3genE5ELNS1_11target_archE942ELNS1_3gpuE9ELNS1_3repE0EEENS1_30default_config_static_selectorELNS0_4arch9wavefront6targetE0EEEvT1_,@function
_ZN7rocprim17ROCPRIM_400000_NS6detail17trampoline_kernelINS0_14default_configENS1_20scan_config_selectorIjEEZZNS1_9scan_implILNS1_25lookback_scan_determinismE0ELb1ELb1ES3_PjS8_jN6hipcub16HIPCUB_304000_NS3SumEjEEDaPvRmT3_T4_T5_mT6_P12ihipStream_tbENKUlT_T0_E_clISt17integral_constantIbLb1EESO_IbLb0EEEEDaSK_SL_EUlSK_E_NS1_11comp_targetILNS1_3genE5ELNS1_11target_archE942ELNS1_3gpuE9ELNS1_3repE0EEENS1_30default_config_static_selectorELNS0_4arch9wavefront6targetE0EEEvT1_: ; @_ZN7rocprim17ROCPRIM_400000_NS6detail17trampoline_kernelINS0_14default_configENS1_20scan_config_selectorIjEEZZNS1_9scan_implILNS1_25lookback_scan_determinismE0ELb1ELb1ES3_PjS8_jN6hipcub16HIPCUB_304000_NS3SumEjEEDaPvRmT3_T4_T5_mT6_P12ihipStream_tbENKUlT_T0_E_clISt17integral_constantIbLb1EESO_IbLb0EEEEDaSK_SL_EUlSK_E_NS1_11comp_targetILNS1_3genE5ELNS1_11target_archE942ELNS1_3gpuE9ELNS1_3repE0EEENS1_30default_config_static_selectorELNS0_4arch9wavefront6targetE0EEEvT1_
; %bb.0:
	.section	.rodata,"a",@progbits
	.p2align	6, 0x0
	.amdhsa_kernel _ZN7rocprim17ROCPRIM_400000_NS6detail17trampoline_kernelINS0_14default_configENS1_20scan_config_selectorIjEEZZNS1_9scan_implILNS1_25lookback_scan_determinismE0ELb1ELb1ES3_PjS8_jN6hipcub16HIPCUB_304000_NS3SumEjEEDaPvRmT3_T4_T5_mT6_P12ihipStream_tbENKUlT_T0_E_clISt17integral_constantIbLb1EESO_IbLb0EEEEDaSK_SL_EUlSK_E_NS1_11comp_targetILNS1_3genE5ELNS1_11target_archE942ELNS1_3gpuE9ELNS1_3repE0EEENS1_30default_config_static_selectorELNS0_4arch9wavefront6targetE0EEEvT1_
		.amdhsa_group_segment_fixed_size 0
		.amdhsa_private_segment_fixed_size 0
		.amdhsa_kernarg_size 96
		.amdhsa_user_sgpr_count 2
		.amdhsa_user_sgpr_dispatch_ptr 0
		.amdhsa_user_sgpr_queue_ptr 0
		.amdhsa_user_sgpr_kernarg_segment_ptr 1
		.amdhsa_user_sgpr_dispatch_id 0
		.amdhsa_user_sgpr_kernarg_preload_length 0
		.amdhsa_user_sgpr_kernarg_preload_offset 0
		.amdhsa_user_sgpr_private_segment_size 0
		.amdhsa_wavefront_size32 1
		.amdhsa_uses_dynamic_stack 0
		.amdhsa_enable_private_segment 0
		.amdhsa_system_sgpr_workgroup_id_x 1
		.amdhsa_system_sgpr_workgroup_id_y 0
		.amdhsa_system_sgpr_workgroup_id_z 0
		.amdhsa_system_sgpr_workgroup_info 0
		.amdhsa_system_vgpr_workitem_id 0
		.amdhsa_next_free_vgpr 1
		.amdhsa_next_free_sgpr 1
		.amdhsa_named_barrier_count 0
		.amdhsa_reserve_vcc 0
		.amdhsa_float_round_mode_32 0
		.amdhsa_float_round_mode_16_64 0
		.amdhsa_float_denorm_mode_32 3
		.amdhsa_float_denorm_mode_16_64 3
		.amdhsa_fp16_overflow 0
		.amdhsa_memory_ordered 1
		.amdhsa_forward_progress 1
		.amdhsa_inst_pref_size 0
		.amdhsa_round_robin_scheduling 0
		.amdhsa_exception_fp_ieee_invalid_op 0
		.amdhsa_exception_fp_denorm_src 0
		.amdhsa_exception_fp_ieee_div_zero 0
		.amdhsa_exception_fp_ieee_overflow 0
		.amdhsa_exception_fp_ieee_underflow 0
		.amdhsa_exception_fp_ieee_inexact 0
		.amdhsa_exception_int_div_zero 0
	.end_amdhsa_kernel
	.section	.text._ZN7rocprim17ROCPRIM_400000_NS6detail17trampoline_kernelINS0_14default_configENS1_20scan_config_selectorIjEEZZNS1_9scan_implILNS1_25lookback_scan_determinismE0ELb1ELb1ES3_PjS8_jN6hipcub16HIPCUB_304000_NS3SumEjEEDaPvRmT3_T4_T5_mT6_P12ihipStream_tbENKUlT_T0_E_clISt17integral_constantIbLb1EESO_IbLb0EEEEDaSK_SL_EUlSK_E_NS1_11comp_targetILNS1_3genE5ELNS1_11target_archE942ELNS1_3gpuE9ELNS1_3repE0EEENS1_30default_config_static_selectorELNS0_4arch9wavefront6targetE0EEEvT1_,"axG",@progbits,_ZN7rocprim17ROCPRIM_400000_NS6detail17trampoline_kernelINS0_14default_configENS1_20scan_config_selectorIjEEZZNS1_9scan_implILNS1_25lookback_scan_determinismE0ELb1ELb1ES3_PjS8_jN6hipcub16HIPCUB_304000_NS3SumEjEEDaPvRmT3_T4_T5_mT6_P12ihipStream_tbENKUlT_T0_E_clISt17integral_constantIbLb1EESO_IbLb0EEEEDaSK_SL_EUlSK_E_NS1_11comp_targetILNS1_3genE5ELNS1_11target_archE942ELNS1_3gpuE9ELNS1_3repE0EEENS1_30default_config_static_selectorELNS0_4arch9wavefront6targetE0EEEvT1_,comdat
.Lfunc_end49:
	.size	_ZN7rocprim17ROCPRIM_400000_NS6detail17trampoline_kernelINS0_14default_configENS1_20scan_config_selectorIjEEZZNS1_9scan_implILNS1_25lookback_scan_determinismE0ELb1ELb1ES3_PjS8_jN6hipcub16HIPCUB_304000_NS3SumEjEEDaPvRmT3_T4_T5_mT6_P12ihipStream_tbENKUlT_T0_E_clISt17integral_constantIbLb1EESO_IbLb0EEEEDaSK_SL_EUlSK_E_NS1_11comp_targetILNS1_3genE5ELNS1_11target_archE942ELNS1_3gpuE9ELNS1_3repE0EEENS1_30default_config_static_selectorELNS0_4arch9wavefront6targetE0EEEvT1_, .Lfunc_end49-_ZN7rocprim17ROCPRIM_400000_NS6detail17trampoline_kernelINS0_14default_configENS1_20scan_config_selectorIjEEZZNS1_9scan_implILNS1_25lookback_scan_determinismE0ELb1ELb1ES3_PjS8_jN6hipcub16HIPCUB_304000_NS3SumEjEEDaPvRmT3_T4_T5_mT6_P12ihipStream_tbENKUlT_T0_E_clISt17integral_constantIbLb1EESO_IbLb0EEEEDaSK_SL_EUlSK_E_NS1_11comp_targetILNS1_3genE5ELNS1_11target_archE942ELNS1_3gpuE9ELNS1_3repE0EEENS1_30default_config_static_selectorELNS0_4arch9wavefront6targetE0EEEvT1_
                                        ; -- End function
	.set _ZN7rocprim17ROCPRIM_400000_NS6detail17trampoline_kernelINS0_14default_configENS1_20scan_config_selectorIjEEZZNS1_9scan_implILNS1_25lookback_scan_determinismE0ELb1ELb1ES3_PjS8_jN6hipcub16HIPCUB_304000_NS3SumEjEEDaPvRmT3_T4_T5_mT6_P12ihipStream_tbENKUlT_T0_E_clISt17integral_constantIbLb1EESO_IbLb0EEEEDaSK_SL_EUlSK_E_NS1_11comp_targetILNS1_3genE5ELNS1_11target_archE942ELNS1_3gpuE9ELNS1_3repE0EEENS1_30default_config_static_selectorELNS0_4arch9wavefront6targetE0EEEvT1_.num_vgpr, 0
	.set _ZN7rocprim17ROCPRIM_400000_NS6detail17trampoline_kernelINS0_14default_configENS1_20scan_config_selectorIjEEZZNS1_9scan_implILNS1_25lookback_scan_determinismE0ELb1ELb1ES3_PjS8_jN6hipcub16HIPCUB_304000_NS3SumEjEEDaPvRmT3_T4_T5_mT6_P12ihipStream_tbENKUlT_T0_E_clISt17integral_constantIbLb1EESO_IbLb0EEEEDaSK_SL_EUlSK_E_NS1_11comp_targetILNS1_3genE5ELNS1_11target_archE942ELNS1_3gpuE9ELNS1_3repE0EEENS1_30default_config_static_selectorELNS0_4arch9wavefront6targetE0EEEvT1_.num_agpr, 0
	.set _ZN7rocprim17ROCPRIM_400000_NS6detail17trampoline_kernelINS0_14default_configENS1_20scan_config_selectorIjEEZZNS1_9scan_implILNS1_25lookback_scan_determinismE0ELb1ELb1ES3_PjS8_jN6hipcub16HIPCUB_304000_NS3SumEjEEDaPvRmT3_T4_T5_mT6_P12ihipStream_tbENKUlT_T0_E_clISt17integral_constantIbLb1EESO_IbLb0EEEEDaSK_SL_EUlSK_E_NS1_11comp_targetILNS1_3genE5ELNS1_11target_archE942ELNS1_3gpuE9ELNS1_3repE0EEENS1_30default_config_static_selectorELNS0_4arch9wavefront6targetE0EEEvT1_.numbered_sgpr, 0
	.set _ZN7rocprim17ROCPRIM_400000_NS6detail17trampoline_kernelINS0_14default_configENS1_20scan_config_selectorIjEEZZNS1_9scan_implILNS1_25lookback_scan_determinismE0ELb1ELb1ES3_PjS8_jN6hipcub16HIPCUB_304000_NS3SumEjEEDaPvRmT3_T4_T5_mT6_P12ihipStream_tbENKUlT_T0_E_clISt17integral_constantIbLb1EESO_IbLb0EEEEDaSK_SL_EUlSK_E_NS1_11comp_targetILNS1_3genE5ELNS1_11target_archE942ELNS1_3gpuE9ELNS1_3repE0EEENS1_30default_config_static_selectorELNS0_4arch9wavefront6targetE0EEEvT1_.num_named_barrier, 0
	.set _ZN7rocprim17ROCPRIM_400000_NS6detail17trampoline_kernelINS0_14default_configENS1_20scan_config_selectorIjEEZZNS1_9scan_implILNS1_25lookback_scan_determinismE0ELb1ELb1ES3_PjS8_jN6hipcub16HIPCUB_304000_NS3SumEjEEDaPvRmT3_T4_T5_mT6_P12ihipStream_tbENKUlT_T0_E_clISt17integral_constantIbLb1EESO_IbLb0EEEEDaSK_SL_EUlSK_E_NS1_11comp_targetILNS1_3genE5ELNS1_11target_archE942ELNS1_3gpuE9ELNS1_3repE0EEENS1_30default_config_static_selectorELNS0_4arch9wavefront6targetE0EEEvT1_.private_seg_size, 0
	.set _ZN7rocprim17ROCPRIM_400000_NS6detail17trampoline_kernelINS0_14default_configENS1_20scan_config_selectorIjEEZZNS1_9scan_implILNS1_25lookback_scan_determinismE0ELb1ELb1ES3_PjS8_jN6hipcub16HIPCUB_304000_NS3SumEjEEDaPvRmT3_T4_T5_mT6_P12ihipStream_tbENKUlT_T0_E_clISt17integral_constantIbLb1EESO_IbLb0EEEEDaSK_SL_EUlSK_E_NS1_11comp_targetILNS1_3genE5ELNS1_11target_archE942ELNS1_3gpuE9ELNS1_3repE0EEENS1_30default_config_static_selectorELNS0_4arch9wavefront6targetE0EEEvT1_.uses_vcc, 0
	.set _ZN7rocprim17ROCPRIM_400000_NS6detail17trampoline_kernelINS0_14default_configENS1_20scan_config_selectorIjEEZZNS1_9scan_implILNS1_25lookback_scan_determinismE0ELb1ELb1ES3_PjS8_jN6hipcub16HIPCUB_304000_NS3SumEjEEDaPvRmT3_T4_T5_mT6_P12ihipStream_tbENKUlT_T0_E_clISt17integral_constantIbLb1EESO_IbLb0EEEEDaSK_SL_EUlSK_E_NS1_11comp_targetILNS1_3genE5ELNS1_11target_archE942ELNS1_3gpuE9ELNS1_3repE0EEENS1_30default_config_static_selectorELNS0_4arch9wavefront6targetE0EEEvT1_.uses_flat_scratch, 0
	.set _ZN7rocprim17ROCPRIM_400000_NS6detail17trampoline_kernelINS0_14default_configENS1_20scan_config_selectorIjEEZZNS1_9scan_implILNS1_25lookback_scan_determinismE0ELb1ELb1ES3_PjS8_jN6hipcub16HIPCUB_304000_NS3SumEjEEDaPvRmT3_T4_T5_mT6_P12ihipStream_tbENKUlT_T0_E_clISt17integral_constantIbLb1EESO_IbLb0EEEEDaSK_SL_EUlSK_E_NS1_11comp_targetILNS1_3genE5ELNS1_11target_archE942ELNS1_3gpuE9ELNS1_3repE0EEENS1_30default_config_static_selectorELNS0_4arch9wavefront6targetE0EEEvT1_.has_dyn_sized_stack, 0
	.set _ZN7rocprim17ROCPRIM_400000_NS6detail17trampoline_kernelINS0_14default_configENS1_20scan_config_selectorIjEEZZNS1_9scan_implILNS1_25lookback_scan_determinismE0ELb1ELb1ES3_PjS8_jN6hipcub16HIPCUB_304000_NS3SumEjEEDaPvRmT3_T4_T5_mT6_P12ihipStream_tbENKUlT_T0_E_clISt17integral_constantIbLb1EESO_IbLb0EEEEDaSK_SL_EUlSK_E_NS1_11comp_targetILNS1_3genE5ELNS1_11target_archE942ELNS1_3gpuE9ELNS1_3repE0EEENS1_30default_config_static_selectorELNS0_4arch9wavefront6targetE0EEEvT1_.has_recursion, 0
	.set _ZN7rocprim17ROCPRIM_400000_NS6detail17trampoline_kernelINS0_14default_configENS1_20scan_config_selectorIjEEZZNS1_9scan_implILNS1_25lookback_scan_determinismE0ELb1ELb1ES3_PjS8_jN6hipcub16HIPCUB_304000_NS3SumEjEEDaPvRmT3_T4_T5_mT6_P12ihipStream_tbENKUlT_T0_E_clISt17integral_constantIbLb1EESO_IbLb0EEEEDaSK_SL_EUlSK_E_NS1_11comp_targetILNS1_3genE5ELNS1_11target_archE942ELNS1_3gpuE9ELNS1_3repE0EEENS1_30default_config_static_selectorELNS0_4arch9wavefront6targetE0EEEvT1_.has_indirect_call, 0
	.section	.AMDGPU.csdata,"",@progbits
; Kernel info:
; codeLenInByte = 0
; TotalNumSgprs: 0
; NumVgprs: 0
; ScratchSize: 0
; MemoryBound: 0
; FloatMode: 240
; IeeeMode: 1
; LDSByteSize: 0 bytes/workgroup (compile time only)
; SGPRBlocks: 0
; VGPRBlocks: 0
; NumSGPRsForWavesPerEU: 1
; NumVGPRsForWavesPerEU: 1
; NamedBarCnt: 0
; Occupancy: 16
; WaveLimiterHint : 0
; COMPUTE_PGM_RSRC2:SCRATCH_EN: 0
; COMPUTE_PGM_RSRC2:USER_SGPR: 2
; COMPUTE_PGM_RSRC2:TRAP_HANDLER: 0
; COMPUTE_PGM_RSRC2:TGID_X_EN: 1
; COMPUTE_PGM_RSRC2:TGID_Y_EN: 0
; COMPUTE_PGM_RSRC2:TGID_Z_EN: 0
; COMPUTE_PGM_RSRC2:TIDIG_COMP_CNT: 0
	.section	.text._ZN7rocprim17ROCPRIM_400000_NS6detail17trampoline_kernelINS0_14default_configENS1_20scan_config_selectorIjEEZZNS1_9scan_implILNS1_25lookback_scan_determinismE0ELb1ELb1ES3_PjS8_jN6hipcub16HIPCUB_304000_NS3SumEjEEDaPvRmT3_T4_T5_mT6_P12ihipStream_tbENKUlT_T0_E_clISt17integral_constantIbLb1EESO_IbLb0EEEEDaSK_SL_EUlSK_E_NS1_11comp_targetILNS1_3genE4ELNS1_11target_archE910ELNS1_3gpuE8ELNS1_3repE0EEENS1_30default_config_static_selectorELNS0_4arch9wavefront6targetE0EEEvT1_,"axG",@progbits,_ZN7rocprim17ROCPRIM_400000_NS6detail17trampoline_kernelINS0_14default_configENS1_20scan_config_selectorIjEEZZNS1_9scan_implILNS1_25lookback_scan_determinismE0ELb1ELb1ES3_PjS8_jN6hipcub16HIPCUB_304000_NS3SumEjEEDaPvRmT3_T4_T5_mT6_P12ihipStream_tbENKUlT_T0_E_clISt17integral_constantIbLb1EESO_IbLb0EEEEDaSK_SL_EUlSK_E_NS1_11comp_targetILNS1_3genE4ELNS1_11target_archE910ELNS1_3gpuE8ELNS1_3repE0EEENS1_30default_config_static_selectorELNS0_4arch9wavefront6targetE0EEEvT1_,comdat
	.protected	_ZN7rocprim17ROCPRIM_400000_NS6detail17trampoline_kernelINS0_14default_configENS1_20scan_config_selectorIjEEZZNS1_9scan_implILNS1_25lookback_scan_determinismE0ELb1ELb1ES3_PjS8_jN6hipcub16HIPCUB_304000_NS3SumEjEEDaPvRmT3_T4_T5_mT6_P12ihipStream_tbENKUlT_T0_E_clISt17integral_constantIbLb1EESO_IbLb0EEEEDaSK_SL_EUlSK_E_NS1_11comp_targetILNS1_3genE4ELNS1_11target_archE910ELNS1_3gpuE8ELNS1_3repE0EEENS1_30default_config_static_selectorELNS0_4arch9wavefront6targetE0EEEvT1_ ; -- Begin function _ZN7rocprim17ROCPRIM_400000_NS6detail17trampoline_kernelINS0_14default_configENS1_20scan_config_selectorIjEEZZNS1_9scan_implILNS1_25lookback_scan_determinismE0ELb1ELb1ES3_PjS8_jN6hipcub16HIPCUB_304000_NS3SumEjEEDaPvRmT3_T4_T5_mT6_P12ihipStream_tbENKUlT_T0_E_clISt17integral_constantIbLb1EESO_IbLb0EEEEDaSK_SL_EUlSK_E_NS1_11comp_targetILNS1_3genE4ELNS1_11target_archE910ELNS1_3gpuE8ELNS1_3repE0EEENS1_30default_config_static_selectorELNS0_4arch9wavefront6targetE0EEEvT1_
	.globl	_ZN7rocprim17ROCPRIM_400000_NS6detail17trampoline_kernelINS0_14default_configENS1_20scan_config_selectorIjEEZZNS1_9scan_implILNS1_25lookback_scan_determinismE0ELb1ELb1ES3_PjS8_jN6hipcub16HIPCUB_304000_NS3SumEjEEDaPvRmT3_T4_T5_mT6_P12ihipStream_tbENKUlT_T0_E_clISt17integral_constantIbLb1EESO_IbLb0EEEEDaSK_SL_EUlSK_E_NS1_11comp_targetILNS1_3genE4ELNS1_11target_archE910ELNS1_3gpuE8ELNS1_3repE0EEENS1_30default_config_static_selectorELNS0_4arch9wavefront6targetE0EEEvT1_
	.p2align	8
	.type	_ZN7rocprim17ROCPRIM_400000_NS6detail17trampoline_kernelINS0_14default_configENS1_20scan_config_selectorIjEEZZNS1_9scan_implILNS1_25lookback_scan_determinismE0ELb1ELb1ES3_PjS8_jN6hipcub16HIPCUB_304000_NS3SumEjEEDaPvRmT3_T4_T5_mT6_P12ihipStream_tbENKUlT_T0_E_clISt17integral_constantIbLb1EESO_IbLb0EEEEDaSK_SL_EUlSK_E_NS1_11comp_targetILNS1_3genE4ELNS1_11target_archE910ELNS1_3gpuE8ELNS1_3repE0EEENS1_30default_config_static_selectorELNS0_4arch9wavefront6targetE0EEEvT1_,@function
_ZN7rocprim17ROCPRIM_400000_NS6detail17trampoline_kernelINS0_14default_configENS1_20scan_config_selectorIjEEZZNS1_9scan_implILNS1_25lookback_scan_determinismE0ELb1ELb1ES3_PjS8_jN6hipcub16HIPCUB_304000_NS3SumEjEEDaPvRmT3_T4_T5_mT6_P12ihipStream_tbENKUlT_T0_E_clISt17integral_constantIbLb1EESO_IbLb0EEEEDaSK_SL_EUlSK_E_NS1_11comp_targetILNS1_3genE4ELNS1_11target_archE910ELNS1_3gpuE8ELNS1_3repE0EEENS1_30default_config_static_selectorELNS0_4arch9wavefront6targetE0EEEvT1_: ; @_ZN7rocprim17ROCPRIM_400000_NS6detail17trampoline_kernelINS0_14default_configENS1_20scan_config_selectorIjEEZZNS1_9scan_implILNS1_25lookback_scan_determinismE0ELb1ELb1ES3_PjS8_jN6hipcub16HIPCUB_304000_NS3SumEjEEDaPvRmT3_T4_T5_mT6_P12ihipStream_tbENKUlT_T0_E_clISt17integral_constantIbLb1EESO_IbLb0EEEEDaSK_SL_EUlSK_E_NS1_11comp_targetILNS1_3genE4ELNS1_11target_archE910ELNS1_3gpuE8ELNS1_3repE0EEENS1_30default_config_static_selectorELNS0_4arch9wavefront6targetE0EEEvT1_
; %bb.0:
	.section	.rodata,"a",@progbits
	.p2align	6, 0x0
	.amdhsa_kernel _ZN7rocprim17ROCPRIM_400000_NS6detail17trampoline_kernelINS0_14default_configENS1_20scan_config_selectorIjEEZZNS1_9scan_implILNS1_25lookback_scan_determinismE0ELb1ELb1ES3_PjS8_jN6hipcub16HIPCUB_304000_NS3SumEjEEDaPvRmT3_T4_T5_mT6_P12ihipStream_tbENKUlT_T0_E_clISt17integral_constantIbLb1EESO_IbLb0EEEEDaSK_SL_EUlSK_E_NS1_11comp_targetILNS1_3genE4ELNS1_11target_archE910ELNS1_3gpuE8ELNS1_3repE0EEENS1_30default_config_static_selectorELNS0_4arch9wavefront6targetE0EEEvT1_
		.amdhsa_group_segment_fixed_size 0
		.amdhsa_private_segment_fixed_size 0
		.amdhsa_kernarg_size 96
		.amdhsa_user_sgpr_count 2
		.amdhsa_user_sgpr_dispatch_ptr 0
		.amdhsa_user_sgpr_queue_ptr 0
		.amdhsa_user_sgpr_kernarg_segment_ptr 1
		.amdhsa_user_sgpr_dispatch_id 0
		.amdhsa_user_sgpr_kernarg_preload_length 0
		.amdhsa_user_sgpr_kernarg_preload_offset 0
		.amdhsa_user_sgpr_private_segment_size 0
		.amdhsa_wavefront_size32 1
		.amdhsa_uses_dynamic_stack 0
		.amdhsa_enable_private_segment 0
		.amdhsa_system_sgpr_workgroup_id_x 1
		.amdhsa_system_sgpr_workgroup_id_y 0
		.amdhsa_system_sgpr_workgroup_id_z 0
		.amdhsa_system_sgpr_workgroup_info 0
		.amdhsa_system_vgpr_workitem_id 0
		.amdhsa_next_free_vgpr 1
		.amdhsa_next_free_sgpr 1
		.amdhsa_named_barrier_count 0
		.amdhsa_reserve_vcc 0
		.amdhsa_float_round_mode_32 0
		.amdhsa_float_round_mode_16_64 0
		.amdhsa_float_denorm_mode_32 3
		.amdhsa_float_denorm_mode_16_64 3
		.amdhsa_fp16_overflow 0
		.amdhsa_memory_ordered 1
		.amdhsa_forward_progress 1
		.amdhsa_inst_pref_size 0
		.amdhsa_round_robin_scheduling 0
		.amdhsa_exception_fp_ieee_invalid_op 0
		.amdhsa_exception_fp_denorm_src 0
		.amdhsa_exception_fp_ieee_div_zero 0
		.amdhsa_exception_fp_ieee_overflow 0
		.amdhsa_exception_fp_ieee_underflow 0
		.amdhsa_exception_fp_ieee_inexact 0
		.amdhsa_exception_int_div_zero 0
	.end_amdhsa_kernel
	.section	.text._ZN7rocprim17ROCPRIM_400000_NS6detail17trampoline_kernelINS0_14default_configENS1_20scan_config_selectorIjEEZZNS1_9scan_implILNS1_25lookback_scan_determinismE0ELb1ELb1ES3_PjS8_jN6hipcub16HIPCUB_304000_NS3SumEjEEDaPvRmT3_T4_T5_mT6_P12ihipStream_tbENKUlT_T0_E_clISt17integral_constantIbLb1EESO_IbLb0EEEEDaSK_SL_EUlSK_E_NS1_11comp_targetILNS1_3genE4ELNS1_11target_archE910ELNS1_3gpuE8ELNS1_3repE0EEENS1_30default_config_static_selectorELNS0_4arch9wavefront6targetE0EEEvT1_,"axG",@progbits,_ZN7rocprim17ROCPRIM_400000_NS6detail17trampoline_kernelINS0_14default_configENS1_20scan_config_selectorIjEEZZNS1_9scan_implILNS1_25lookback_scan_determinismE0ELb1ELb1ES3_PjS8_jN6hipcub16HIPCUB_304000_NS3SumEjEEDaPvRmT3_T4_T5_mT6_P12ihipStream_tbENKUlT_T0_E_clISt17integral_constantIbLb1EESO_IbLb0EEEEDaSK_SL_EUlSK_E_NS1_11comp_targetILNS1_3genE4ELNS1_11target_archE910ELNS1_3gpuE8ELNS1_3repE0EEENS1_30default_config_static_selectorELNS0_4arch9wavefront6targetE0EEEvT1_,comdat
.Lfunc_end50:
	.size	_ZN7rocprim17ROCPRIM_400000_NS6detail17trampoline_kernelINS0_14default_configENS1_20scan_config_selectorIjEEZZNS1_9scan_implILNS1_25lookback_scan_determinismE0ELb1ELb1ES3_PjS8_jN6hipcub16HIPCUB_304000_NS3SumEjEEDaPvRmT3_T4_T5_mT6_P12ihipStream_tbENKUlT_T0_E_clISt17integral_constantIbLb1EESO_IbLb0EEEEDaSK_SL_EUlSK_E_NS1_11comp_targetILNS1_3genE4ELNS1_11target_archE910ELNS1_3gpuE8ELNS1_3repE0EEENS1_30default_config_static_selectorELNS0_4arch9wavefront6targetE0EEEvT1_, .Lfunc_end50-_ZN7rocprim17ROCPRIM_400000_NS6detail17trampoline_kernelINS0_14default_configENS1_20scan_config_selectorIjEEZZNS1_9scan_implILNS1_25lookback_scan_determinismE0ELb1ELb1ES3_PjS8_jN6hipcub16HIPCUB_304000_NS3SumEjEEDaPvRmT3_T4_T5_mT6_P12ihipStream_tbENKUlT_T0_E_clISt17integral_constantIbLb1EESO_IbLb0EEEEDaSK_SL_EUlSK_E_NS1_11comp_targetILNS1_3genE4ELNS1_11target_archE910ELNS1_3gpuE8ELNS1_3repE0EEENS1_30default_config_static_selectorELNS0_4arch9wavefront6targetE0EEEvT1_
                                        ; -- End function
	.set _ZN7rocprim17ROCPRIM_400000_NS6detail17trampoline_kernelINS0_14default_configENS1_20scan_config_selectorIjEEZZNS1_9scan_implILNS1_25lookback_scan_determinismE0ELb1ELb1ES3_PjS8_jN6hipcub16HIPCUB_304000_NS3SumEjEEDaPvRmT3_T4_T5_mT6_P12ihipStream_tbENKUlT_T0_E_clISt17integral_constantIbLb1EESO_IbLb0EEEEDaSK_SL_EUlSK_E_NS1_11comp_targetILNS1_3genE4ELNS1_11target_archE910ELNS1_3gpuE8ELNS1_3repE0EEENS1_30default_config_static_selectorELNS0_4arch9wavefront6targetE0EEEvT1_.num_vgpr, 0
	.set _ZN7rocprim17ROCPRIM_400000_NS6detail17trampoline_kernelINS0_14default_configENS1_20scan_config_selectorIjEEZZNS1_9scan_implILNS1_25lookback_scan_determinismE0ELb1ELb1ES3_PjS8_jN6hipcub16HIPCUB_304000_NS3SumEjEEDaPvRmT3_T4_T5_mT6_P12ihipStream_tbENKUlT_T0_E_clISt17integral_constantIbLb1EESO_IbLb0EEEEDaSK_SL_EUlSK_E_NS1_11comp_targetILNS1_3genE4ELNS1_11target_archE910ELNS1_3gpuE8ELNS1_3repE0EEENS1_30default_config_static_selectorELNS0_4arch9wavefront6targetE0EEEvT1_.num_agpr, 0
	.set _ZN7rocprim17ROCPRIM_400000_NS6detail17trampoline_kernelINS0_14default_configENS1_20scan_config_selectorIjEEZZNS1_9scan_implILNS1_25lookback_scan_determinismE0ELb1ELb1ES3_PjS8_jN6hipcub16HIPCUB_304000_NS3SumEjEEDaPvRmT3_T4_T5_mT6_P12ihipStream_tbENKUlT_T0_E_clISt17integral_constantIbLb1EESO_IbLb0EEEEDaSK_SL_EUlSK_E_NS1_11comp_targetILNS1_3genE4ELNS1_11target_archE910ELNS1_3gpuE8ELNS1_3repE0EEENS1_30default_config_static_selectorELNS0_4arch9wavefront6targetE0EEEvT1_.numbered_sgpr, 0
	.set _ZN7rocprim17ROCPRIM_400000_NS6detail17trampoline_kernelINS0_14default_configENS1_20scan_config_selectorIjEEZZNS1_9scan_implILNS1_25lookback_scan_determinismE0ELb1ELb1ES3_PjS8_jN6hipcub16HIPCUB_304000_NS3SumEjEEDaPvRmT3_T4_T5_mT6_P12ihipStream_tbENKUlT_T0_E_clISt17integral_constantIbLb1EESO_IbLb0EEEEDaSK_SL_EUlSK_E_NS1_11comp_targetILNS1_3genE4ELNS1_11target_archE910ELNS1_3gpuE8ELNS1_3repE0EEENS1_30default_config_static_selectorELNS0_4arch9wavefront6targetE0EEEvT1_.num_named_barrier, 0
	.set _ZN7rocprim17ROCPRIM_400000_NS6detail17trampoline_kernelINS0_14default_configENS1_20scan_config_selectorIjEEZZNS1_9scan_implILNS1_25lookback_scan_determinismE0ELb1ELb1ES3_PjS8_jN6hipcub16HIPCUB_304000_NS3SumEjEEDaPvRmT3_T4_T5_mT6_P12ihipStream_tbENKUlT_T0_E_clISt17integral_constantIbLb1EESO_IbLb0EEEEDaSK_SL_EUlSK_E_NS1_11comp_targetILNS1_3genE4ELNS1_11target_archE910ELNS1_3gpuE8ELNS1_3repE0EEENS1_30default_config_static_selectorELNS0_4arch9wavefront6targetE0EEEvT1_.private_seg_size, 0
	.set _ZN7rocprim17ROCPRIM_400000_NS6detail17trampoline_kernelINS0_14default_configENS1_20scan_config_selectorIjEEZZNS1_9scan_implILNS1_25lookback_scan_determinismE0ELb1ELb1ES3_PjS8_jN6hipcub16HIPCUB_304000_NS3SumEjEEDaPvRmT3_T4_T5_mT6_P12ihipStream_tbENKUlT_T0_E_clISt17integral_constantIbLb1EESO_IbLb0EEEEDaSK_SL_EUlSK_E_NS1_11comp_targetILNS1_3genE4ELNS1_11target_archE910ELNS1_3gpuE8ELNS1_3repE0EEENS1_30default_config_static_selectorELNS0_4arch9wavefront6targetE0EEEvT1_.uses_vcc, 0
	.set _ZN7rocprim17ROCPRIM_400000_NS6detail17trampoline_kernelINS0_14default_configENS1_20scan_config_selectorIjEEZZNS1_9scan_implILNS1_25lookback_scan_determinismE0ELb1ELb1ES3_PjS8_jN6hipcub16HIPCUB_304000_NS3SumEjEEDaPvRmT3_T4_T5_mT6_P12ihipStream_tbENKUlT_T0_E_clISt17integral_constantIbLb1EESO_IbLb0EEEEDaSK_SL_EUlSK_E_NS1_11comp_targetILNS1_3genE4ELNS1_11target_archE910ELNS1_3gpuE8ELNS1_3repE0EEENS1_30default_config_static_selectorELNS0_4arch9wavefront6targetE0EEEvT1_.uses_flat_scratch, 0
	.set _ZN7rocprim17ROCPRIM_400000_NS6detail17trampoline_kernelINS0_14default_configENS1_20scan_config_selectorIjEEZZNS1_9scan_implILNS1_25lookback_scan_determinismE0ELb1ELb1ES3_PjS8_jN6hipcub16HIPCUB_304000_NS3SumEjEEDaPvRmT3_T4_T5_mT6_P12ihipStream_tbENKUlT_T0_E_clISt17integral_constantIbLb1EESO_IbLb0EEEEDaSK_SL_EUlSK_E_NS1_11comp_targetILNS1_3genE4ELNS1_11target_archE910ELNS1_3gpuE8ELNS1_3repE0EEENS1_30default_config_static_selectorELNS0_4arch9wavefront6targetE0EEEvT1_.has_dyn_sized_stack, 0
	.set _ZN7rocprim17ROCPRIM_400000_NS6detail17trampoline_kernelINS0_14default_configENS1_20scan_config_selectorIjEEZZNS1_9scan_implILNS1_25lookback_scan_determinismE0ELb1ELb1ES3_PjS8_jN6hipcub16HIPCUB_304000_NS3SumEjEEDaPvRmT3_T4_T5_mT6_P12ihipStream_tbENKUlT_T0_E_clISt17integral_constantIbLb1EESO_IbLb0EEEEDaSK_SL_EUlSK_E_NS1_11comp_targetILNS1_3genE4ELNS1_11target_archE910ELNS1_3gpuE8ELNS1_3repE0EEENS1_30default_config_static_selectorELNS0_4arch9wavefront6targetE0EEEvT1_.has_recursion, 0
	.set _ZN7rocprim17ROCPRIM_400000_NS6detail17trampoline_kernelINS0_14default_configENS1_20scan_config_selectorIjEEZZNS1_9scan_implILNS1_25lookback_scan_determinismE0ELb1ELb1ES3_PjS8_jN6hipcub16HIPCUB_304000_NS3SumEjEEDaPvRmT3_T4_T5_mT6_P12ihipStream_tbENKUlT_T0_E_clISt17integral_constantIbLb1EESO_IbLb0EEEEDaSK_SL_EUlSK_E_NS1_11comp_targetILNS1_3genE4ELNS1_11target_archE910ELNS1_3gpuE8ELNS1_3repE0EEENS1_30default_config_static_selectorELNS0_4arch9wavefront6targetE0EEEvT1_.has_indirect_call, 0
	.section	.AMDGPU.csdata,"",@progbits
; Kernel info:
; codeLenInByte = 0
; TotalNumSgprs: 0
; NumVgprs: 0
; ScratchSize: 0
; MemoryBound: 0
; FloatMode: 240
; IeeeMode: 1
; LDSByteSize: 0 bytes/workgroup (compile time only)
; SGPRBlocks: 0
; VGPRBlocks: 0
; NumSGPRsForWavesPerEU: 1
; NumVGPRsForWavesPerEU: 1
; NamedBarCnt: 0
; Occupancy: 16
; WaveLimiterHint : 0
; COMPUTE_PGM_RSRC2:SCRATCH_EN: 0
; COMPUTE_PGM_RSRC2:USER_SGPR: 2
; COMPUTE_PGM_RSRC2:TRAP_HANDLER: 0
; COMPUTE_PGM_RSRC2:TGID_X_EN: 1
; COMPUTE_PGM_RSRC2:TGID_Y_EN: 0
; COMPUTE_PGM_RSRC2:TGID_Z_EN: 0
; COMPUTE_PGM_RSRC2:TIDIG_COMP_CNT: 0
	.section	.text._ZN7rocprim17ROCPRIM_400000_NS6detail17trampoline_kernelINS0_14default_configENS1_20scan_config_selectorIjEEZZNS1_9scan_implILNS1_25lookback_scan_determinismE0ELb1ELb1ES3_PjS8_jN6hipcub16HIPCUB_304000_NS3SumEjEEDaPvRmT3_T4_T5_mT6_P12ihipStream_tbENKUlT_T0_E_clISt17integral_constantIbLb1EESO_IbLb0EEEEDaSK_SL_EUlSK_E_NS1_11comp_targetILNS1_3genE3ELNS1_11target_archE908ELNS1_3gpuE7ELNS1_3repE0EEENS1_30default_config_static_selectorELNS0_4arch9wavefront6targetE0EEEvT1_,"axG",@progbits,_ZN7rocprim17ROCPRIM_400000_NS6detail17trampoline_kernelINS0_14default_configENS1_20scan_config_selectorIjEEZZNS1_9scan_implILNS1_25lookback_scan_determinismE0ELb1ELb1ES3_PjS8_jN6hipcub16HIPCUB_304000_NS3SumEjEEDaPvRmT3_T4_T5_mT6_P12ihipStream_tbENKUlT_T0_E_clISt17integral_constantIbLb1EESO_IbLb0EEEEDaSK_SL_EUlSK_E_NS1_11comp_targetILNS1_3genE3ELNS1_11target_archE908ELNS1_3gpuE7ELNS1_3repE0EEENS1_30default_config_static_selectorELNS0_4arch9wavefront6targetE0EEEvT1_,comdat
	.protected	_ZN7rocprim17ROCPRIM_400000_NS6detail17trampoline_kernelINS0_14default_configENS1_20scan_config_selectorIjEEZZNS1_9scan_implILNS1_25lookback_scan_determinismE0ELb1ELb1ES3_PjS8_jN6hipcub16HIPCUB_304000_NS3SumEjEEDaPvRmT3_T4_T5_mT6_P12ihipStream_tbENKUlT_T0_E_clISt17integral_constantIbLb1EESO_IbLb0EEEEDaSK_SL_EUlSK_E_NS1_11comp_targetILNS1_3genE3ELNS1_11target_archE908ELNS1_3gpuE7ELNS1_3repE0EEENS1_30default_config_static_selectorELNS0_4arch9wavefront6targetE0EEEvT1_ ; -- Begin function _ZN7rocprim17ROCPRIM_400000_NS6detail17trampoline_kernelINS0_14default_configENS1_20scan_config_selectorIjEEZZNS1_9scan_implILNS1_25lookback_scan_determinismE0ELb1ELb1ES3_PjS8_jN6hipcub16HIPCUB_304000_NS3SumEjEEDaPvRmT3_T4_T5_mT6_P12ihipStream_tbENKUlT_T0_E_clISt17integral_constantIbLb1EESO_IbLb0EEEEDaSK_SL_EUlSK_E_NS1_11comp_targetILNS1_3genE3ELNS1_11target_archE908ELNS1_3gpuE7ELNS1_3repE0EEENS1_30default_config_static_selectorELNS0_4arch9wavefront6targetE0EEEvT1_
	.globl	_ZN7rocprim17ROCPRIM_400000_NS6detail17trampoline_kernelINS0_14default_configENS1_20scan_config_selectorIjEEZZNS1_9scan_implILNS1_25lookback_scan_determinismE0ELb1ELb1ES3_PjS8_jN6hipcub16HIPCUB_304000_NS3SumEjEEDaPvRmT3_T4_T5_mT6_P12ihipStream_tbENKUlT_T0_E_clISt17integral_constantIbLb1EESO_IbLb0EEEEDaSK_SL_EUlSK_E_NS1_11comp_targetILNS1_3genE3ELNS1_11target_archE908ELNS1_3gpuE7ELNS1_3repE0EEENS1_30default_config_static_selectorELNS0_4arch9wavefront6targetE0EEEvT1_
	.p2align	8
	.type	_ZN7rocprim17ROCPRIM_400000_NS6detail17trampoline_kernelINS0_14default_configENS1_20scan_config_selectorIjEEZZNS1_9scan_implILNS1_25lookback_scan_determinismE0ELb1ELb1ES3_PjS8_jN6hipcub16HIPCUB_304000_NS3SumEjEEDaPvRmT3_T4_T5_mT6_P12ihipStream_tbENKUlT_T0_E_clISt17integral_constantIbLb1EESO_IbLb0EEEEDaSK_SL_EUlSK_E_NS1_11comp_targetILNS1_3genE3ELNS1_11target_archE908ELNS1_3gpuE7ELNS1_3repE0EEENS1_30default_config_static_selectorELNS0_4arch9wavefront6targetE0EEEvT1_,@function
_ZN7rocprim17ROCPRIM_400000_NS6detail17trampoline_kernelINS0_14default_configENS1_20scan_config_selectorIjEEZZNS1_9scan_implILNS1_25lookback_scan_determinismE0ELb1ELb1ES3_PjS8_jN6hipcub16HIPCUB_304000_NS3SumEjEEDaPvRmT3_T4_T5_mT6_P12ihipStream_tbENKUlT_T0_E_clISt17integral_constantIbLb1EESO_IbLb0EEEEDaSK_SL_EUlSK_E_NS1_11comp_targetILNS1_3genE3ELNS1_11target_archE908ELNS1_3gpuE7ELNS1_3repE0EEENS1_30default_config_static_selectorELNS0_4arch9wavefront6targetE0EEEvT1_: ; @_ZN7rocprim17ROCPRIM_400000_NS6detail17trampoline_kernelINS0_14default_configENS1_20scan_config_selectorIjEEZZNS1_9scan_implILNS1_25lookback_scan_determinismE0ELb1ELb1ES3_PjS8_jN6hipcub16HIPCUB_304000_NS3SumEjEEDaPvRmT3_T4_T5_mT6_P12ihipStream_tbENKUlT_T0_E_clISt17integral_constantIbLb1EESO_IbLb0EEEEDaSK_SL_EUlSK_E_NS1_11comp_targetILNS1_3genE3ELNS1_11target_archE908ELNS1_3gpuE7ELNS1_3repE0EEENS1_30default_config_static_selectorELNS0_4arch9wavefront6targetE0EEEvT1_
; %bb.0:
	.section	.rodata,"a",@progbits
	.p2align	6, 0x0
	.amdhsa_kernel _ZN7rocprim17ROCPRIM_400000_NS6detail17trampoline_kernelINS0_14default_configENS1_20scan_config_selectorIjEEZZNS1_9scan_implILNS1_25lookback_scan_determinismE0ELb1ELb1ES3_PjS8_jN6hipcub16HIPCUB_304000_NS3SumEjEEDaPvRmT3_T4_T5_mT6_P12ihipStream_tbENKUlT_T0_E_clISt17integral_constantIbLb1EESO_IbLb0EEEEDaSK_SL_EUlSK_E_NS1_11comp_targetILNS1_3genE3ELNS1_11target_archE908ELNS1_3gpuE7ELNS1_3repE0EEENS1_30default_config_static_selectorELNS0_4arch9wavefront6targetE0EEEvT1_
		.amdhsa_group_segment_fixed_size 0
		.amdhsa_private_segment_fixed_size 0
		.amdhsa_kernarg_size 96
		.amdhsa_user_sgpr_count 2
		.amdhsa_user_sgpr_dispatch_ptr 0
		.amdhsa_user_sgpr_queue_ptr 0
		.amdhsa_user_sgpr_kernarg_segment_ptr 1
		.amdhsa_user_sgpr_dispatch_id 0
		.amdhsa_user_sgpr_kernarg_preload_length 0
		.amdhsa_user_sgpr_kernarg_preload_offset 0
		.amdhsa_user_sgpr_private_segment_size 0
		.amdhsa_wavefront_size32 1
		.amdhsa_uses_dynamic_stack 0
		.amdhsa_enable_private_segment 0
		.amdhsa_system_sgpr_workgroup_id_x 1
		.amdhsa_system_sgpr_workgroup_id_y 0
		.amdhsa_system_sgpr_workgroup_id_z 0
		.amdhsa_system_sgpr_workgroup_info 0
		.amdhsa_system_vgpr_workitem_id 0
		.amdhsa_next_free_vgpr 1
		.amdhsa_next_free_sgpr 1
		.amdhsa_named_barrier_count 0
		.amdhsa_reserve_vcc 0
		.amdhsa_float_round_mode_32 0
		.amdhsa_float_round_mode_16_64 0
		.amdhsa_float_denorm_mode_32 3
		.amdhsa_float_denorm_mode_16_64 3
		.amdhsa_fp16_overflow 0
		.amdhsa_memory_ordered 1
		.amdhsa_forward_progress 1
		.amdhsa_inst_pref_size 0
		.amdhsa_round_robin_scheduling 0
		.amdhsa_exception_fp_ieee_invalid_op 0
		.amdhsa_exception_fp_denorm_src 0
		.amdhsa_exception_fp_ieee_div_zero 0
		.amdhsa_exception_fp_ieee_overflow 0
		.amdhsa_exception_fp_ieee_underflow 0
		.amdhsa_exception_fp_ieee_inexact 0
		.amdhsa_exception_int_div_zero 0
	.end_amdhsa_kernel
	.section	.text._ZN7rocprim17ROCPRIM_400000_NS6detail17trampoline_kernelINS0_14default_configENS1_20scan_config_selectorIjEEZZNS1_9scan_implILNS1_25lookback_scan_determinismE0ELb1ELb1ES3_PjS8_jN6hipcub16HIPCUB_304000_NS3SumEjEEDaPvRmT3_T4_T5_mT6_P12ihipStream_tbENKUlT_T0_E_clISt17integral_constantIbLb1EESO_IbLb0EEEEDaSK_SL_EUlSK_E_NS1_11comp_targetILNS1_3genE3ELNS1_11target_archE908ELNS1_3gpuE7ELNS1_3repE0EEENS1_30default_config_static_selectorELNS0_4arch9wavefront6targetE0EEEvT1_,"axG",@progbits,_ZN7rocprim17ROCPRIM_400000_NS6detail17trampoline_kernelINS0_14default_configENS1_20scan_config_selectorIjEEZZNS1_9scan_implILNS1_25lookback_scan_determinismE0ELb1ELb1ES3_PjS8_jN6hipcub16HIPCUB_304000_NS3SumEjEEDaPvRmT3_T4_T5_mT6_P12ihipStream_tbENKUlT_T0_E_clISt17integral_constantIbLb1EESO_IbLb0EEEEDaSK_SL_EUlSK_E_NS1_11comp_targetILNS1_3genE3ELNS1_11target_archE908ELNS1_3gpuE7ELNS1_3repE0EEENS1_30default_config_static_selectorELNS0_4arch9wavefront6targetE0EEEvT1_,comdat
.Lfunc_end51:
	.size	_ZN7rocprim17ROCPRIM_400000_NS6detail17trampoline_kernelINS0_14default_configENS1_20scan_config_selectorIjEEZZNS1_9scan_implILNS1_25lookback_scan_determinismE0ELb1ELb1ES3_PjS8_jN6hipcub16HIPCUB_304000_NS3SumEjEEDaPvRmT3_T4_T5_mT6_P12ihipStream_tbENKUlT_T0_E_clISt17integral_constantIbLb1EESO_IbLb0EEEEDaSK_SL_EUlSK_E_NS1_11comp_targetILNS1_3genE3ELNS1_11target_archE908ELNS1_3gpuE7ELNS1_3repE0EEENS1_30default_config_static_selectorELNS0_4arch9wavefront6targetE0EEEvT1_, .Lfunc_end51-_ZN7rocprim17ROCPRIM_400000_NS6detail17trampoline_kernelINS0_14default_configENS1_20scan_config_selectorIjEEZZNS1_9scan_implILNS1_25lookback_scan_determinismE0ELb1ELb1ES3_PjS8_jN6hipcub16HIPCUB_304000_NS3SumEjEEDaPvRmT3_T4_T5_mT6_P12ihipStream_tbENKUlT_T0_E_clISt17integral_constantIbLb1EESO_IbLb0EEEEDaSK_SL_EUlSK_E_NS1_11comp_targetILNS1_3genE3ELNS1_11target_archE908ELNS1_3gpuE7ELNS1_3repE0EEENS1_30default_config_static_selectorELNS0_4arch9wavefront6targetE0EEEvT1_
                                        ; -- End function
	.set _ZN7rocprim17ROCPRIM_400000_NS6detail17trampoline_kernelINS0_14default_configENS1_20scan_config_selectorIjEEZZNS1_9scan_implILNS1_25lookback_scan_determinismE0ELb1ELb1ES3_PjS8_jN6hipcub16HIPCUB_304000_NS3SumEjEEDaPvRmT3_T4_T5_mT6_P12ihipStream_tbENKUlT_T0_E_clISt17integral_constantIbLb1EESO_IbLb0EEEEDaSK_SL_EUlSK_E_NS1_11comp_targetILNS1_3genE3ELNS1_11target_archE908ELNS1_3gpuE7ELNS1_3repE0EEENS1_30default_config_static_selectorELNS0_4arch9wavefront6targetE0EEEvT1_.num_vgpr, 0
	.set _ZN7rocprim17ROCPRIM_400000_NS6detail17trampoline_kernelINS0_14default_configENS1_20scan_config_selectorIjEEZZNS1_9scan_implILNS1_25lookback_scan_determinismE0ELb1ELb1ES3_PjS8_jN6hipcub16HIPCUB_304000_NS3SumEjEEDaPvRmT3_T4_T5_mT6_P12ihipStream_tbENKUlT_T0_E_clISt17integral_constantIbLb1EESO_IbLb0EEEEDaSK_SL_EUlSK_E_NS1_11comp_targetILNS1_3genE3ELNS1_11target_archE908ELNS1_3gpuE7ELNS1_3repE0EEENS1_30default_config_static_selectorELNS0_4arch9wavefront6targetE0EEEvT1_.num_agpr, 0
	.set _ZN7rocprim17ROCPRIM_400000_NS6detail17trampoline_kernelINS0_14default_configENS1_20scan_config_selectorIjEEZZNS1_9scan_implILNS1_25lookback_scan_determinismE0ELb1ELb1ES3_PjS8_jN6hipcub16HIPCUB_304000_NS3SumEjEEDaPvRmT3_T4_T5_mT6_P12ihipStream_tbENKUlT_T0_E_clISt17integral_constantIbLb1EESO_IbLb0EEEEDaSK_SL_EUlSK_E_NS1_11comp_targetILNS1_3genE3ELNS1_11target_archE908ELNS1_3gpuE7ELNS1_3repE0EEENS1_30default_config_static_selectorELNS0_4arch9wavefront6targetE0EEEvT1_.numbered_sgpr, 0
	.set _ZN7rocprim17ROCPRIM_400000_NS6detail17trampoline_kernelINS0_14default_configENS1_20scan_config_selectorIjEEZZNS1_9scan_implILNS1_25lookback_scan_determinismE0ELb1ELb1ES3_PjS8_jN6hipcub16HIPCUB_304000_NS3SumEjEEDaPvRmT3_T4_T5_mT6_P12ihipStream_tbENKUlT_T0_E_clISt17integral_constantIbLb1EESO_IbLb0EEEEDaSK_SL_EUlSK_E_NS1_11comp_targetILNS1_3genE3ELNS1_11target_archE908ELNS1_3gpuE7ELNS1_3repE0EEENS1_30default_config_static_selectorELNS0_4arch9wavefront6targetE0EEEvT1_.num_named_barrier, 0
	.set _ZN7rocprim17ROCPRIM_400000_NS6detail17trampoline_kernelINS0_14default_configENS1_20scan_config_selectorIjEEZZNS1_9scan_implILNS1_25lookback_scan_determinismE0ELb1ELb1ES3_PjS8_jN6hipcub16HIPCUB_304000_NS3SumEjEEDaPvRmT3_T4_T5_mT6_P12ihipStream_tbENKUlT_T0_E_clISt17integral_constantIbLb1EESO_IbLb0EEEEDaSK_SL_EUlSK_E_NS1_11comp_targetILNS1_3genE3ELNS1_11target_archE908ELNS1_3gpuE7ELNS1_3repE0EEENS1_30default_config_static_selectorELNS0_4arch9wavefront6targetE0EEEvT1_.private_seg_size, 0
	.set _ZN7rocprim17ROCPRIM_400000_NS6detail17trampoline_kernelINS0_14default_configENS1_20scan_config_selectorIjEEZZNS1_9scan_implILNS1_25lookback_scan_determinismE0ELb1ELb1ES3_PjS8_jN6hipcub16HIPCUB_304000_NS3SumEjEEDaPvRmT3_T4_T5_mT6_P12ihipStream_tbENKUlT_T0_E_clISt17integral_constantIbLb1EESO_IbLb0EEEEDaSK_SL_EUlSK_E_NS1_11comp_targetILNS1_3genE3ELNS1_11target_archE908ELNS1_3gpuE7ELNS1_3repE0EEENS1_30default_config_static_selectorELNS0_4arch9wavefront6targetE0EEEvT1_.uses_vcc, 0
	.set _ZN7rocprim17ROCPRIM_400000_NS6detail17trampoline_kernelINS0_14default_configENS1_20scan_config_selectorIjEEZZNS1_9scan_implILNS1_25lookback_scan_determinismE0ELb1ELb1ES3_PjS8_jN6hipcub16HIPCUB_304000_NS3SumEjEEDaPvRmT3_T4_T5_mT6_P12ihipStream_tbENKUlT_T0_E_clISt17integral_constantIbLb1EESO_IbLb0EEEEDaSK_SL_EUlSK_E_NS1_11comp_targetILNS1_3genE3ELNS1_11target_archE908ELNS1_3gpuE7ELNS1_3repE0EEENS1_30default_config_static_selectorELNS0_4arch9wavefront6targetE0EEEvT1_.uses_flat_scratch, 0
	.set _ZN7rocprim17ROCPRIM_400000_NS6detail17trampoline_kernelINS0_14default_configENS1_20scan_config_selectorIjEEZZNS1_9scan_implILNS1_25lookback_scan_determinismE0ELb1ELb1ES3_PjS8_jN6hipcub16HIPCUB_304000_NS3SumEjEEDaPvRmT3_T4_T5_mT6_P12ihipStream_tbENKUlT_T0_E_clISt17integral_constantIbLb1EESO_IbLb0EEEEDaSK_SL_EUlSK_E_NS1_11comp_targetILNS1_3genE3ELNS1_11target_archE908ELNS1_3gpuE7ELNS1_3repE0EEENS1_30default_config_static_selectorELNS0_4arch9wavefront6targetE0EEEvT1_.has_dyn_sized_stack, 0
	.set _ZN7rocprim17ROCPRIM_400000_NS6detail17trampoline_kernelINS0_14default_configENS1_20scan_config_selectorIjEEZZNS1_9scan_implILNS1_25lookback_scan_determinismE0ELb1ELb1ES3_PjS8_jN6hipcub16HIPCUB_304000_NS3SumEjEEDaPvRmT3_T4_T5_mT6_P12ihipStream_tbENKUlT_T0_E_clISt17integral_constantIbLb1EESO_IbLb0EEEEDaSK_SL_EUlSK_E_NS1_11comp_targetILNS1_3genE3ELNS1_11target_archE908ELNS1_3gpuE7ELNS1_3repE0EEENS1_30default_config_static_selectorELNS0_4arch9wavefront6targetE0EEEvT1_.has_recursion, 0
	.set _ZN7rocprim17ROCPRIM_400000_NS6detail17trampoline_kernelINS0_14default_configENS1_20scan_config_selectorIjEEZZNS1_9scan_implILNS1_25lookback_scan_determinismE0ELb1ELb1ES3_PjS8_jN6hipcub16HIPCUB_304000_NS3SumEjEEDaPvRmT3_T4_T5_mT6_P12ihipStream_tbENKUlT_T0_E_clISt17integral_constantIbLb1EESO_IbLb0EEEEDaSK_SL_EUlSK_E_NS1_11comp_targetILNS1_3genE3ELNS1_11target_archE908ELNS1_3gpuE7ELNS1_3repE0EEENS1_30default_config_static_selectorELNS0_4arch9wavefront6targetE0EEEvT1_.has_indirect_call, 0
	.section	.AMDGPU.csdata,"",@progbits
; Kernel info:
; codeLenInByte = 0
; TotalNumSgprs: 0
; NumVgprs: 0
; ScratchSize: 0
; MemoryBound: 0
; FloatMode: 240
; IeeeMode: 1
; LDSByteSize: 0 bytes/workgroup (compile time only)
; SGPRBlocks: 0
; VGPRBlocks: 0
; NumSGPRsForWavesPerEU: 1
; NumVGPRsForWavesPerEU: 1
; NamedBarCnt: 0
; Occupancy: 16
; WaveLimiterHint : 0
; COMPUTE_PGM_RSRC2:SCRATCH_EN: 0
; COMPUTE_PGM_RSRC2:USER_SGPR: 2
; COMPUTE_PGM_RSRC2:TRAP_HANDLER: 0
; COMPUTE_PGM_RSRC2:TGID_X_EN: 1
; COMPUTE_PGM_RSRC2:TGID_Y_EN: 0
; COMPUTE_PGM_RSRC2:TGID_Z_EN: 0
; COMPUTE_PGM_RSRC2:TIDIG_COMP_CNT: 0
	.section	.text._ZN7rocprim17ROCPRIM_400000_NS6detail17trampoline_kernelINS0_14default_configENS1_20scan_config_selectorIjEEZZNS1_9scan_implILNS1_25lookback_scan_determinismE0ELb1ELb1ES3_PjS8_jN6hipcub16HIPCUB_304000_NS3SumEjEEDaPvRmT3_T4_T5_mT6_P12ihipStream_tbENKUlT_T0_E_clISt17integral_constantIbLb1EESO_IbLb0EEEEDaSK_SL_EUlSK_E_NS1_11comp_targetILNS1_3genE2ELNS1_11target_archE906ELNS1_3gpuE6ELNS1_3repE0EEENS1_30default_config_static_selectorELNS0_4arch9wavefront6targetE0EEEvT1_,"axG",@progbits,_ZN7rocprim17ROCPRIM_400000_NS6detail17trampoline_kernelINS0_14default_configENS1_20scan_config_selectorIjEEZZNS1_9scan_implILNS1_25lookback_scan_determinismE0ELb1ELb1ES3_PjS8_jN6hipcub16HIPCUB_304000_NS3SumEjEEDaPvRmT3_T4_T5_mT6_P12ihipStream_tbENKUlT_T0_E_clISt17integral_constantIbLb1EESO_IbLb0EEEEDaSK_SL_EUlSK_E_NS1_11comp_targetILNS1_3genE2ELNS1_11target_archE906ELNS1_3gpuE6ELNS1_3repE0EEENS1_30default_config_static_selectorELNS0_4arch9wavefront6targetE0EEEvT1_,comdat
	.protected	_ZN7rocprim17ROCPRIM_400000_NS6detail17trampoline_kernelINS0_14default_configENS1_20scan_config_selectorIjEEZZNS1_9scan_implILNS1_25lookback_scan_determinismE0ELb1ELb1ES3_PjS8_jN6hipcub16HIPCUB_304000_NS3SumEjEEDaPvRmT3_T4_T5_mT6_P12ihipStream_tbENKUlT_T0_E_clISt17integral_constantIbLb1EESO_IbLb0EEEEDaSK_SL_EUlSK_E_NS1_11comp_targetILNS1_3genE2ELNS1_11target_archE906ELNS1_3gpuE6ELNS1_3repE0EEENS1_30default_config_static_selectorELNS0_4arch9wavefront6targetE0EEEvT1_ ; -- Begin function _ZN7rocprim17ROCPRIM_400000_NS6detail17trampoline_kernelINS0_14default_configENS1_20scan_config_selectorIjEEZZNS1_9scan_implILNS1_25lookback_scan_determinismE0ELb1ELb1ES3_PjS8_jN6hipcub16HIPCUB_304000_NS3SumEjEEDaPvRmT3_T4_T5_mT6_P12ihipStream_tbENKUlT_T0_E_clISt17integral_constantIbLb1EESO_IbLb0EEEEDaSK_SL_EUlSK_E_NS1_11comp_targetILNS1_3genE2ELNS1_11target_archE906ELNS1_3gpuE6ELNS1_3repE0EEENS1_30default_config_static_selectorELNS0_4arch9wavefront6targetE0EEEvT1_
	.globl	_ZN7rocprim17ROCPRIM_400000_NS6detail17trampoline_kernelINS0_14default_configENS1_20scan_config_selectorIjEEZZNS1_9scan_implILNS1_25lookback_scan_determinismE0ELb1ELb1ES3_PjS8_jN6hipcub16HIPCUB_304000_NS3SumEjEEDaPvRmT3_T4_T5_mT6_P12ihipStream_tbENKUlT_T0_E_clISt17integral_constantIbLb1EESO_IbLb0EEEEDaSK_SL_EUlSK_E_NS1_11comp_targetILNS1_3genE2ELNS1_11target_archE906ELNS1_3gpuE6ELNS1_3repE0EEENS1_30default_config_static_selectorELNS0_4arch9wavefront6targetE0EEEvT1_
	.p2align	8
	.type	_ZN7rocprim17ROCPRIM_400000_NS6detail17trampoline_kernelINS0_14default_configENS1_20scan_config_selectorIjEEZZNS1_9scan_implILNS1_25lookback_scan_determinismE0ELb1ELb1ES3_PjS8_jN6hipcub16HIPCUB_304000_NS3SumEjEEDaPvRmT3_T4_T5_mT6_P12ihipStream_tbENKUlT_T0_E_clISt17integral_constantIbLb1EESO_IbLb0EEEEDaSK_SL_EUlSK_E_NS1_11comp_targetILNS1_3genE2ELNS1_11target_archE906ELNS1_3gpuE6ELNS1_3repE0EEENS1_30default_config_static_selectorELNS0_4arch9wavefront6targetE0EEEvT1_,@function
_ZN7rocprim17ROCPRIM_400000_NS6detail17trampoline_kernelINS0_14default_configENS1_20scan_config_selectorIjEEZZNS1_9scan_implILNS1_25lookback_scan_determinismE0ELb1ELb1ES3_PjS8_jN6hipcub16HIPCUB_304000_NS3SumEjEEDaPvRmT3_T4_T5_mT6_P12ihipStream_tbENKUlT_T0_E_clISt17integral_constantIbLb1EESO_IbLb0EEEEDaSK_SL_EUlSK_E_NS1_11comp_targetILNS1_3genE2ELNS1_11target_archE906ELNS1_3gpuE6ELNS1_3repE0EEENS1_30default_config_static_selectorELNS0_4arch9wavefront6targetE0EEEvT1_: ; @_ZN7rocprim17ROCPRIM_400000_NS6detail17trampoline_kernelINS0_14default_configENS1_20scan_config_selectorIjEEZZNS1_9scan_implILNS1_25lookback_scan_determinismE0ELb1ELb1ES3_PjS8_jN6hipcub16HIPCUB_304000_NS3SumEjEEDaPvRmT3_T4_T5_mT6_P12ihipStream_tbENKUlT_T0_E_clISt17integral_constantIbLb1EESO_IbLb0EEEEDaSK_SL_EUlSK_E_NS1_11comp_targetILNS1_3genE2ELNS1_11target_archE906ELNS1_3gpuE6ELNS1_3repE0EEENS1_30default_config_static_selectorELNS0_4arch9wavefront6targetE0EEEvT1_
; %bb.0:
	.section	.rodata,"a",@progbits
	.p2align	6, 0x0
	.amdhsa_kernel _ZN7rocprim17ROCPRIM_400000_NS6detail17trampoline_kernelINS0_14default_configENS1_20scan_config_selectorIjEEZZNS1_9scan_implILNS1_25lookback_scan_determinismE0ELb1ELb1ES3_PjS8_jN6hipcub16HIPCUB_304000_NS3SumEjEEDaPvRmT3_T4_T5_mT6_P12ihipStream_tbENKUlT_T0_E_clISt17integral_constantIbLb1EESO_IbLb0EEEEDaSK_SL_EUlSK_E_NS1_11comp_targetILNS1_3genE2ELNS1_11target_archE906ELNS1_3gpuE6ELNS1_3repE0EEENS1_30default_config_static_selectorELNS0_4arch9wavefront6targetE0EEEvT1_
		.amdhsa_group_segment_fixed_size 0
		.amdhsa_private_segment_fixed_size 0
		.amdhsa_kernarg_size 96
		.amdhsa_user_sgpr_count 2
		.amdhsa_user_sgpr_dispatch_ptr 0
		.amdhsa_user_sgpr_queue_ptr 0
		.amdhsa_user_sgpr_kernarg_segment_ptr 1
		.amdhsa_user_sgpr_dispatch_id 0
		.amdhsa_user_sgpr_kernarg_preload_length 0
		.amdhsa_user_sgpr_kernarg_preload_offset 0
		.amdhsa_user_sgpr_private_segment_size 0
		.amdhsa_wavefront_size32 1
		.amdhsa_uses_dynamic_stack 0
		.amdhsa_enable_private_segment 0
		.amdhsa_system_sgpr_workgroup_id_x 1
		.amdhsa_system_sgpr_workgroup_id_y 0
		.amdhsa_system_sgpr_workgroup_id_z 0
		.amdhsa_system_sgpr_workgroup_info 0
		.amdhsa_system_vgpr_workitem_id 0
		.amdhsa_next_free_vgpr 1
		.amdhsa_next_free_sgpr 1
		.amdhsa_named_barrier_count 0
		.amdhsa_reserve_vcc 0
		.amdhsa_float_round_mode_32 0
		.amdhsa_float_round_mode_16_64 0
		.amdhsa_float_denorm_mode_32 3
		.amdhsa_float_denorm_mode_16_64 3
		.amdhsa_fp16_overflow 0
		.amdhsa_memory_ordered 1
		.amdhsa_forward_progress 1
		.amdhsa_inst_pref_size 0
		.amdhsa_round_robin_scheduling 0
		.amdhsa_exception_fp_ieee_invalid_op 0
		.amdhsa_exception_fp_denorm_src 0
		.amdhsa_exception_fp_ieee_div_zero 0
		.amdhsa_exception_fp_ieee_overflow 0
		.amdhsa_exception_fp_ieee_underflow 0
		.amdhsa_exception_fp_ieee_inexact 0
		.amdhsa_exception_int_div_zero 0
	.end_amdhsa_kernel
	.section	.text._ZN7rocprim17ROCPRIM_400000_NS6detail17trampoline_kernelINS0_14default_configENS1_20scan_config_selectorIjEEZZNS1_9scan_implILNS1_25lookback_scan_determinismE0ELb1ELb1ES3_PjS8_jN6hipcub16HIPCUB_304000_NS3SumEjEEDaPvRmT3_T4_T5_mT6_P12ihipStream_tbENKUlT_T0_E_clISt17integral_constantIbLb1EESO_IbLb0EEEEDaSK_SL_EUlSK_E_NS1_11comp_targetILNS1_3genE2ELNS1_11target_archE906ELNS1_3gpuE6ELNS1_3repE0EEENS1_30default_config_static_selectorELNS0_4arch9wavefront6targetE0EEEvT1_,"axG",@progbits,_ZN7rocprim17ROCPRIM_400000_NS6detail17trampoline_kernelINS0_14default_configENS1_20scan_config_selectorIjEEZZNS1_9scan_implILNS1_25lookback_scan_determinismE0ELb1ELb1ES3_PjS8_jN6hipcub16HIPCUB_304000_NS3SumEjEEDaPvRmT3_T4_T5_mT6_P12ihipStream_tbENKUlT_T0_E_clISt17integral_constantIbLb1EESO_IbLb0EEEEDaSK_SL_EUlSK_E_NS1_11comp_targetILNS1_3genE2ELNS1_11target_archE906ELNS1_3gpuE6ELNS1_3repE0EEENS1_30default_config_static_selectorELNS0_4arch9wavefront6targetE0EEEvT1_,comdat
.Lfunc_end52:
	.size	_ZN7rocprim17ROCPRIM_400000_NS6detail17trampoline_kernelINS0_14default_configENS1_20scan_config_selectorIjEEZZNS1_9scan_implILNS1_25lookback_scan_determinismE0ELb1ELb1ES3_PjS8_jN6hipcub16HIPCUB_304000_NS3SumEjEEDaPvRmT3_T4_T5_mT6_P12ihipStream_tbENKUlT_T0_E_clISt17integral_constantIbLb1EESO_IbLb0EEEEDaSK_SL_EUlSK_E_NS1_11comp_targetILNS1_3genE2ELNS1_11target_archE906ELNS1_3gpuE6ELNS1_3repE0EEENS1_30default_config_static_selectorELNS0_4arch9wavefront6targetE0EEEvT1_, .Lfunc_end52-_ZN7rocprim17ROCPRIM_400000_NS6detail17trampoline_kernelINS0_14default_configENS1_20scan_config_selectorIjEEZZNS1_9scan_implILNS1_25lookback_scan_determinismE0ELb1ELb1ES3_PjS8_jN6hipcub16HIPCUB_304000_NS3SumEjEEDaPvRmT3_T4_T5_mT6_P12ihipStream_tbENKUlT_T0_E_clISt17integral_constantIbLb1EESO_IbLb0EEEEDaSK_SL_EUlSK_E_NS1_11comp_targetILNS1_3genE2ELNS1_11target_archE906ELNS1_3gpuE6ELNS1_3repE0EEENS1_30default_config_static_selectorELNS0_4arch9wavefront6targetE0EEEvT1_
                                        ; -- End function
	.set _ZN7rocprim17ROCPRIM_400000_NS6detail17trampoline_kernelINS0_14default_configENS1_20scan_config_selectorIjEEZZNS1_9scan_implILNS1_25lookback_scan_determinismE0ELb1ELb1ES3_PjS8_jN6hipcub16HIPCUB_304000_NS3SumEjEEDaPvRmT3_T4_T5_mT6_P12ihipStream_tbENKUlT_T0_E_clISt17integral_constantIbLb1EESO_IbLb0EEEEDaSK_SL_EUlSK_E_NS1_11comp_targetILNS1_3genE2ELNS1_11target_archE906ELNS1_3gpuE6ELNS1_3repE0EEENS1_30default_config_static_selectorELNS0_4arch9wavefront6targetE0EEEvT1_.num_vgpr, 0
	.set _ZN7rocprim17ROCPRIM_400000_NS6detail17trampoline_kernelINS0_14default_configENS1_20scan_config_selectorIjEEZZNS1_9scan_implILNS1_25lookback_scan_determinismE0ELb1ELb1ES3_PjS8_jN6hipcub16HIPCUB_304000_NS3SumEjEEDaPvRmT3_T4_T5_mT6_P12ihipStream_tbENKUlT_T0_E_clISt17integral_constantIbLb1EESO_IbLb0EEEEDaSK_SL_EUlSK_E_NS1_11comp_targetILNS1_3genE2ELNS1_11target_archE906ELNS1_3gpuE6ELNS1_3repE0EEENS1_30default_config_static_selectorELNS0_4arch9wavefront6targetE0EEEvT1_.num_agpr, 0
	.set _ZN7rocprim17ROCPRIM_400000_NS6detail17trampoline_kernelINS0_14default_configENS1_20scan_config_selectorIjEEZZNS1_9scan_implILNS1_25lookback_scan_determinismE0ELb1ELb1ES3_PjS8_jN6hipcub16HIPCUB_304000_NS3SumEjEEDaPvRmT3_T4_T5_mT6_P12ihipStream_tbENKUlT_T0_E_clISt17integral_constantIbLb1EESO_IbLb0EEEEDaSK_SL_EUlSK_E_NS1_11comp_targetILNS1_3genE2ELNS1_11target_archE906ELNS1_3gpuE6ELNS1_3repE0EEENS1_30default_config_static_selectorELNS0_4arch9wavefront6targetE0EEEvT1_.numbered_sgpr, 0
	.set _ZN7rocprim17ROCPRIM_400000_NS6detail17trampoline_kernelINS0_14default_configENS1_20scan_config_selectorIjEEZZNS1_9scan_implILNS1_25lookback_scan_determinismE0ELb1ELb1ES3_PjS8_jN6hipcub16HIPCUB_304000_NS3SumEjEEDaPvRmT3_T4_T5_mT6_P12ihipStream_tbENKUlT_T0_E_clISt17integral_constantIbLb1EESO_IbLb0EEEEDaSK_SL_EUlSK_E_NS1_11comp_targetILNS1_3genE2ELNS1_11target_archE906ELNS1_3gpuE6ELNS1_3repE0EEENS1_30default_config_static_selectorELNS0_4arch9wavefront6targetE0EEEvT1_.num_named_barrier, 0
	.set _ZN7rocprim17ROCPRIM_400000_NS6detail17trampoline_kernelINS0_14default_configENS1_20scan_config_selectorIjEEZZNS1_9scan_implILNS1_25lookback_scan_determinismE0ELb1ELb1ES3_PjS8_jN6hipcub16HIPCUB_304000_NS3SumEjEEDaPvRmT3_T4_T5_mT6_P12ihipStream_tbENKUlT_T0_E_clISt17integral_constantIbLb1EESO_IbLb0EEEEDaSK_SL_EUlSK_E_NS1_11comp_targetILNS1_3genE2ELNS1_11target_archE906ELNS1_3gpuE6ELNS1_3repE0EEENS1_30default_config_static_selectorELNS0_4arch9wavefront6targetE0EEEvT1_.private_seg_size, 0
	.set _ZN7rocprim17ROCPRIM_400000_NS6detail17trampoline_kernelINS0_14default_configENS1_20scan_config_selectorIjEEZZNS1_9scan_implILNS1_25lookback_scan_determinismE0ELb1ELb1ES3_PjS8_jN6hipcub16HIPCUB_304000_NS3SumEjEEDaPvRmT3_T4_T5_mT6_P12ihipStream_tbENKUlT_T0_E_clISt17integral_constantIbLb1EESO_IbLb0EEEEDaSK_SL_EUlSK_E_NS1_11comp_targetILNS1_3genE2ELNS1_11target_archE906ELNS1_3gpuE6ELNS1_3repE0EEENS1_30default_config_static_selectorELNS0_4arch9wavefront6targetE0EEEvT1_.uses_vcc, 0
	.set _ZN7rocprim17ROCPRIM_400000_NS6detail17trampoline_kernelINS0_14default_configENS1_20scan_config_selectorIjEEZZNS1_9scan_implILNS1_25lookback_scan_determinismE0ELb1ELb1ES3_PjS8_jN6hipcub16HIPCUB_304000_NS3SumEjEEDaPvRmT3_T4_T5_mT6_P12ihipStream_tbENKUlT_T0_E_clISt17integral_constantIbLb1EESO_IbLb0EEEEDaSK_SL_EUlSK_E_NS1_11comp_targetILNS1_3genE2ELNS1_11target_archE906ELNS1_3gpuE6ELNS1_3repE0EEENS1_30default_config_static_selectorELNS0_4arch9wavefront6targetE0EEEvT1_.uses_flat_scratch, 0
	.set _ZN7rocprim17ROCPRIM_400000_NS6detail17trampoline_kernelINS0_14default_configENS1_20scan_config_selectorIjEEZZNS1_9scan_implILNS1_25lookback_scan_determinismE0ELb1ELb1ES3_PjS8_jN6hipcub16HIPCUB_304000_NS3SumEjEEDaPvRmT3_T4_T5_mT6_P12ihipStream_tbENKUlT_T0_E_clISt17integral_constantIbLb1EESO_IbLb0EEEEDaSK_SL_EUlSK_E_NS1_11comp_targetILNS1_3genE2ELNS1_11target_archE906ELNS1_3gpuE6ELNS1_3repE0EEENS1_30default_config_static_selectorELNS0_4arch9wavefront6targetE0EEEvT1_.has_dyn_sized_stack, 0
	.set _ZN7rocprim17ROCPRIM_400000_NS6detail17trampoline_kernelINS0_14default_configENS1_20scan_config_selectorIjEEZZNS1_9scan_implILNS1_25lookback_scan_determinismE0ELb1ELb1ES3_PjS8_jN6hipcub16HIPCUB_304000_NS3SumEjEEDaPvRmT3_T4_T5_mT6_P12ihipStream_tbENKUlT_T0_E_clISt17integral_constantIbLb1EESO_IbLb0EEEEDaSK_SL_EUlSK_E_NS1_11comp_targetILNS1_3genE2ELNS1_11target_archE906ELNS1_3gpuE6ELNS1_3repE0EEENS1_30default_config_static_selectorELNS0_4arch9wavefront6targetE0EEEvT1_.has_recursion, 0
	.set _ZN7rocprim17ROCPRIM_400000_NS6detail17trampoline_kernelINS0_14default_configENS1_20scan_config_selectorIjEEZZNS1_9scan_implILNS1_25lookback_scan_determinismE0ELb1ELb1ES3_PjS8_jN6hipcub16HIPCUB_304000_NS3SumEjEEDaPvRmT3_T4_T5_mT6_P12ihipStream_tbENKUlT_T0_E_clISt17integral_constantIbLb1EESO_IbLb0EEEEDaSK_SL_EUlSK_E_NS1_11comp_targetILNS1_3genE2ELNS1_11target_archE906ELNS1_3gpuE6ELNS1_3repE0EEENS1_30default_config_static_selectorELNS0_4arch9wavefront6targetE0EEEvT1_.has_indirect_call, 0
	.section	.AMDGPU.csdata,"",@progbits
; Kernel info:
; codeLenInByte = 0
; TotalNumSgprs: 0
; NumVgprs: 0
; ScratchSize: 0
; MemoryBound: 0
; FloatMode: 240
; IeeeMode: 1
; LDSByteSize: 0 bytes/workgroup (compile time only)
; SGPRBlocks: 0
; VGPRBlocks: 0
; NumSGPRsForWavesPerEU: 1
; NumVGPRsForWavesPerEU: 1
; NamedBarCnt: 0
; Occupancy: 16
; WaveLimiterHint : 0
; COMPUTE_PGM_RSRC2:SCRATCH_EN: 0
; COMPUTE_PGM_RSRC2:USER_SGPR: 2
; COMPUTE_PGM_RSRC2:TRAP_HANDLER: 0
; COMPUTE_PGM_RSRC2:TGID_X_EN: 1
; COMPUTE_PGM_RSRC2:TGID_Y_EN: 0
; COMPUTE_PGM_RSRC2:TGID_Z_EN: 0
; COMPUTE_PGM_RSRC2:TIDIG_COMP_CNT: 0
	.section	.text._ZN7rocprim17ROCPRIM_400000_NS6detail17trampoline_kernelINS0_14default_configENS1_20scan_config_selectorIjEEZZNS1_9scan_implILNS1_25lookback_scan_determinismE0ELb1ELb1ES3_PjS8_jN6hipcub16HIPCUB_304000_NS3SumEjEEDaPvRmT3_T4_T5_mT6_P12ihipStream_tbENKUlT_T0_E_clISt17integral_constantIbLb1EESO_IbLb0EEEEDaSK_SL_EUlSK_E_NS1_11comp_targetILNS1_3genE10ELNS1_11target_archE1201ELNS1_3gpuE5ELNS1_3repE0EEENS1_30default_config_static_selectorELNS0_4arch9wavefront6targetE0EEEvT1_,"axG",@progbits,_ZN7rocprim17ROCPRIM_400000_NS6detail17trampoline_kernelINS0_14default_configENS1_20scan_config_selectorIjEEZZNS1_9scan_implILNS1_25lookback_scan_determinismE0ELb1ELb1ES3_PjS8_jN6hipcub16HIPCUB_304000_NS3SumEjEEDaPvRmT3_T4_T5_mT6_P12ihipStream_tbENKUlT_T0_E_clISt17integral_constantIbLb1EESO_IbLb0EEEEDaSK_SL_EUlSK_E_NS1_11comp_targetILNS1_3genE10ELNS1_11target_archE1201ELNS1_3gpuE5ELNS1_3repE0EEENS1_30default_config_static_selectorELNS0_4arch9wavefront6targetE0EEEvT1_,comdat
	.protected	_ZN7rocprim17ROCPRIM_400000_NS6detail17trampoline_kernelINS0_14default_configENS1_20scan_config_selectorIjEEZZNS1_9scan_implILNS1_25lookback_scan_determinismE0ELb1ELb1ES3_PjS8_jN6hipcub16HIPCUB_304000_NS3SumEjEEDaPvRmT3_T4_T5_mT6_P12ihipStream_tbENKUlT_T0_E_clISt17integral_constantIbLb1EESO_IbLb0EEEEDaSK_SL_EUlSK_E_NS1_11comp_targetILNS1_3genE10ELNS1_11target_archE1201ELNS1_3gpuE5ELNS1_3repE0EEENS1_30default_config_static_selectorELNS0_4arch9wavefront6targetE0EEEvT1_ ; -- Begin function _ZN7rocprim17ROCPRIM_400000_NS6detail17trampoline_kernelINS0_14default_configENS1_20scan_config_selectorIjEEZZNS1_9scan_implILNS1_25lookback_scan_determinismE0ELb1ELb1ES3_PjS8_jN6hipcub16HIPCUB_304000_NS3SumEjEEDaPvRmT3_T4_T5_mT6_P12ihipStream_tbENKUlT_T0_E_clISt17integral_constantIbLb1EESO_IbLb0EEEEDaSK_SL_EUlSK_E_NS1_11comp_targetILNS1_3genE10ELNS1_11target_archE1201ELNS1_3gpuE5ELNS1_3repE0EEENS1_30default_config_static_selectorELNS0_4arch9wavefront6targetE0EEEvT1_
	.globl	_ZN7rocprim17ROCPRIM_400000_NS6detail17trampoline_kernelINS0_14default_configENS1_20scan_config_selectorIjEEZZNS1_9scan_implILNS1_25lookback_scan_determinismE0ELb1ELb1ES3_PjS8_jN6hipcub16HIPCUB_304000_NS3SumEjEEDaPvRmT3_T4_T5_mT6_P12ihipStream_tbENKUlT_T0_E_clISt17integral_constantIbLb1EESO_IbLb0EEEEDaSK_SL_EUlSK_E_NS1_11comp_targetILNS1_3genE10ELNS1_11target_archE1201ELNS1_3gpuE5ELNS1_3repE0EEENS1_30default_config_static_selectorELNS0_4arch9wavefront6targetE0EEEvT1_
	.p2align	8
	.type	_ZN7rocprim17ROCPRIM_400000_NS6detail17trampoline_kernelINS0_14default_configENS1_20scan_config_selectorIjEEZZNS1_9scan_implILNS1_25lookback_scan_determinismE0ELb1ELb1ES3_PjS8_jN6hipcub16HIPCUB_304000_NS3SumEjEEDaPvRmT3_T4_T5_mT6_P12ihipStream_tbENKUlT_T0_E_clISt17integral_constantIbLb1EESO_IbLb0EEEEDaSK_SL_EUlSK_E_NS1_11comp_targetILNS1_3genE10ELNS1_11target_archE1201ELNS1_3gpuE5ELNS1_3repE0EEENS1_30default_config_static_selectorELNS0_4arch9wavefront6targetE0EEEvT1_,@function
_ZN7rocprim17ROCPRIM_400000_NS6detail17trampoline_kernelINS0_14default_configENS1_20scan_config_selectorIjEEZZNS1_9scan_implILNS1_25lookback_scan_determinismE0ELb1ELb1ES3_PjS8_jN6hipcub16HIPCUB_304000_NS3SumEjEEDaPvRmT3_T4_T5_mT6_P12ihipStream_tbENKUlT_T0_E_clISt17integral_constantIbLb1EESO_IbLb0EEEEDaSK_SL_EUlSK_E_NS1_11comp_targetILNS1_3genE10ELNS1_11target_archE1201ELNS1_3gpuE5ELNS1_3repE0EEENS1_30default_config_static_selectorELNS0_4arch9wavefront6targetE0EEEvT1_: ; @_ZN7rocprim17ROCPRIM_400000_NS6detail17trampoline_kernelINS0_14default_configENS1_20scan_config_selectorIjEEZZNS1_9scan_implILNS1_25lookback_scan_determinismE0ELb1ELb1ES3_PjS8_jN6hipcub16HIPCUB_304000_NS3SumEjEEDaPvRmT3_T4_T5_mT6_P12ihipStream_tbENKUlT_T0_E_clISt17integral_constantIbLb1EESO_IbLb0EEEEDaSK_SL_EUlSK_E_NS1_11comp_targetILNS1_3genE10ELNS1_11target_archE1201ELNS1_3gpuE5ELNS1_3repE0EEENS1_30default_config_static_selectorELNS0_4arch9wavefront6targetE0EEEvT1_
; %bb.0:
	.section	.rodata,"a",@progbits
	.p2align	6, 0x0
	.amdhsa_kernel _ZN7rocprim17ROCPRIM_400000_NS6detail17trampoline_kernelINS0_14default_configENS1_20scan_config_selectorIjEEZZNS1_9scan_implILNS1_25lookback_scan_determinismE0ELb1ELb1ES3_PjS8_jN6hipcub16HIPCUB_304000_NS3SumEjEEDaPvRmT3_T4_T5_mT6_P12ihipStream_tbENKUlT_T0_E_clISt17integral_constantIbLb1EESO_IbLb0EEEEDaSK_SL_EUlSK_E_NS1_11comp_targetILNS1_3genE10ELNS1_11target_archE1201ELNS1_3gpuE5ELNS1_3repE0EEENS1_30default_config_static_selectorELNS0_4arch9wavefront6targetE0EEEvT1_
		.amdhsa_group_segment_fixed_size 0
		.amdhsa_private_segment_fixed_size 0
		.amdhsa_kernarg_size 96
		.amdhsa_user_sgpr_count 2
		.amdhsa_user_sgpr_dispatch_ptr 0
		.amdhsa_user_sgpr_queue_ptr 0
		.amdhsa_user_sgpr_kernarg_segment_ptr 1
		.amdhsa_user_sgpr_dispatch_id 0
		.amdhsa_user_sgpr_kernarg_preload_length 0
		.amdhsa_user_sgpr_kernarg_preload_offset 0
		.amdhsa_user_sgpr_private_segment_size 0
		.amdhsa_wavefront_size32 1
		.amdhsa_uses_dynamic_stack 0
		.amdhsa_enable_private_segment 0
		.amdhsa_system_sgpr_workgroup_id_x 1
		.amdhsa_system_sgpr_workgroup_id_y 0
		.amdhsa_system_sgpr_workgroup_id_z 0
		.amdhsa_system_sgpr_workgroup_info 0
		.amdhsa_system_vgpr_workitem_id 0
		.amdhsa_next_free_vgpr 1
		.amdhsa_next_free_sgpr 1
		.amdhsa_named_barrier_count 0
		.amdhsa_reserve_vcc 0
		.amdhsa_float_round_mode_32 0
		.amdhsa_float_round_mode_16_64 0
		.amdhsa_float_denorm_mode_32 3
		.amdhsa_float_denorm_mode_16_64 3
		.amdhsa_fp16_overflow 0
		.amdhsa_memory_ordered 1
		.amdhsa_forward_progress 1
		.amdhsa_inst_pref_size 0
		.amdhsa_round_robin_scheduling 0
		.amdhsa_exception_fp_ieee_invalid_op 0
		.amdhsa_exception_fp_denorm_src 0
		.amdhsa_exception_fp_ieee_div_zero 0
		.amdhsa_exception_fp_ieee_overflow 0
		.amdhsa_exception_fp_ieee_underflow 0
		.amdhsa_exception_fp_ieee_inexact 0
		.amdhsa_exception_int_div_zero 0
	.end_amdhsa_kernel
	.section	.text._ZN7rocprim17ROCPRIM_400000_NS6detail17trampoline_kernelINS0_14default_configENS1_20scan_config_selectorIjEEZZNS1_9scan_implILNS1_25lookback_scan_determinismE0ELb1ELb1ES3_PjS8_jN6hipcub16HIPCUB_304000_NS3SumEjEEDaPvRmT3_T4_T5_mT6_P12ihipStream_tbENKUlT_T0_E_clISt17integral_constantIbLb1EESO_IbLb0EEEEDaSK_SL_EUlSK_E_NS1_11comp_targetILNS1_3genE10ELNS1_11target_archE1201ELNS1_3gpuE5ELNS1_3repE0EEENS1_30default_config_static_selectorELNS0_4arch9wavefront6targetE0EEEvT1_,"axG",@progbits,_ZN7rocprim17ROCPRIM_400000_NS6detail17trampoline_kernelINS0_14default_configENS1_20scan_config_selectorIjEEZZNS1_9scan_implILNS1_25lookback_scan_determinismE0ELb1ELb1ES3_PjS8_jN6hipcub16HIPCUB_304000_NS3SumEjEEDaPvRmT3_T4_T5_mT6_P12ihipStream_tbENKUlT_T0_E_clISt17integral_constantIbLb1EESO_IbLb0EEEEDaSK_SL_EUlSK_E_NS1_11comp_targetILNS1_3genE10ELNS1_11target_archE1201ELNS1_3gpuE5ELNS1_3repE0EEENS1_30default_config_static_selectorELNS0_4arch9wavefront6targetE0EEEvT1_,comdat
.Lfunc_end53:
	.size	_ZN7rocprim17ROCPRIM_400000_NS6detail17trampoline_kernelINS0_14default_configENS1_20scan_config_selectorIjEEZZNS1_9scan_implILNS1_25lookback_scan_determinismE0ELb1ELb1ES3_PjS8_jN6hipcub16HIPCUB_304000_NS3SumEjEEDaPvRmT3_T4_T5_mT6_P12ihipStream_tbENKUlT_T0_E_clISt17integral_constantIbLb1EESO_IbLb0EEEEDaSK_SL_EUlSK_E_NS1_11comp_targetILNS1_3genE10ELNS1_11target_archE1201ELNS1_3gpuE5ELNS1_3repE0EEENS1_30default_config_static_selectorELNS0_4arch9wavefront6targetE0EEEvT1_, .Lfunc_end53-_ZN7rocprim17ROCPRIM_400000_NS6detail17trampoline_kernelINS0_14default_configENS1_20scan_config_selectorIjEEZZNS1_9scan_implILNS1_25lookback_scan_determinismE0ELb1ELb1ES3_PjS8_jN6hipcub16HIPCUB_304000_NS3SumEjEEDaPvRmT3_T4_T5_mT6_P12ihipStream_tbENKUlT_T0_E_clISt17integral_constantIbLb1EESO_IbLb0EEEEDaSK_SL_EUlSK_E_NS1_11comp_targetILNS1_3genE10ELNS1_11target_archE1201ELNS1_3gpuE5ELNS1_3repE0EEENS1_30default_config_static_selectorELNS0_4arch9wavefront6targetE0EEEvT1_
                                        ; -- End function
	.set _ZN7rocprim17ROCPRIM_400000_NS6detail17trampoline_kernelINS0_14default_configENS1_20scan_config_selectorIjEEZZNS1_9scan_implILNS1_25lookback_scan_determinismE0ELb1ELb1ES3_PjS8_jN6hipcub16HIPCUB_304000_NS3SumEjEEDaPvRmT3_T4_T5_mT6_P12ihipStream_tbENKUlT_T0_E_clISt17integral_constantIbLb1EESO_IbLb0EEEEDaSK_SL_EUlSK_E_NS1_11comp_targetILNS1_3genE10ELNS1_11target_archE1201ELNS1_3gpuE5ELNS1_3repE0EEENS1_30default_config_static_selectorELNS0_4arch9wavefront6targetE0EEEvT1_.num_vgpr, 0
	.set _ZN7rocprim17ROCPRIM_400000_NS6detail17trampoline_kernelINS0_14default_configENS1_20scan_config_selectorIjEEZZNS1_9scan_implILNS1_25lookback_scan_determinismE0ELb1ELb1ES3_PjS8_jN6hipcub16HIPCUB_304000_NS3SumEjEEDaPvRmT3_T4_T5_mT6_P12ihipStream_tbENKUlT_T0_E_clISt17integral_constantIbLb1EESO_IbLb0EEEEDaSK_SL_EUlSK_E_NS1_11comp_targetILNS1_3genE10ELNS1_11target_archE1201ELNS1_3gpuE5ELNS1_3repE0EEENS1_30default_config_static_selectorELNS0_4arch9wavefront6targetE0EEEvT1_.num_agpr, 0
	.set _ZN7rocprim17ROCPRIM_400000_NS6detail17trampoline_kernelINS0_14default_configENS1_20scan_config_selectorIjEEZZNS1_9scan_implILNS1_25lookback_scan_determinismE0ELb1ELb1ES3_PjS8_jN6hipcub16HIPCUB_304000_NS3SumEjEEDaPvRmT3_T4_T5_mT6_P12ihipStream_tbENKUlT_T0_E_clISt17integral_constantIbLb1EESO_IbLb0EEEEDaSK_SL_EUlSK_E_NS1_11comp_targetILNS1_3genE10ELNS1_11target_archE1201ELNS1_3gpuE5ELNS1_3repE0EEENS1_30default_config_static_selectorELNS0_4arch9wavefront6targetE0EEEvT1_.numbered_sgpr, 0
	.set _ZN7rocprim17ROCPRIM_400000_NS6detail17trampoline_kernelINS0_14default_configENS1_20scan_config_selectorIjEEZZNS1_9scan_implILNS1_25lookback_scan_determinismE0ELb1ELb1ES3_PjS8_jN6hipcub16HIPCUB_304000_NS3SumEjEEDaPvRmT3_T4_T5_mT6_P12ihipStream_tbENKUlT_T0_E_clISt17integral_constantIbLb1EESO_IbLb0EEEEDaSK_SL_EUlSK_E_NS1_11comp_targetILNS1_3genE10ELNS1_11target_archE1201ELNS1_3gpuE5ELNS1_3repE0EEENS1_30default_config_static_selectorELNS0_4arch9wavefront6targetE0EEEvT1_.num_named_barrier, 0
	.set _ZN7rocprim17ROCPRIM_400000_NS6detail17trampoline_kernelINS0_14default_configENS1_20scan_config_selectorIjEEZZNS1_9scan_implILNS1_25lookback_scan_determinismE0ELb1ELb1ES3_PjS8_jN6hipcub16HIPCUB_304000_NS3SumEjEEDaPvRmT3_T4_T5_mT6_P12ihipStream_tbENKUlT_T0_E_clISt17integral_constantIbLb1EESO_IbLb0EEEEDaSK_SL_EUlSK_E_NS1_11comp_targetILNS1_3genE10ELNS1_11target_archE1201ELNS1_3gpuE5ELNS1_3repE0EEENS1_30default_config_static_selectorELNS0_4arch9wavefront6targetE0EEEvT1_.private_seg_size, 0
	.set _ZN7rocprim17ROCPRIM_400000_NS6detail17trampoline_kernelINS0_14default_configENS1_20scan_config_selectorIjEEZZNS1_9scan_implILNS1_25lookback_scan_determinismE0ELb1ELb1ES3_PjS8_jN6hipcub16HIPCUB_304000_NS3SumEjEEDaPvRmT3_T4_T5_mT6_P12ihipStream_tbENKUlT_T0_E_clISt17integral_constantIbLb1EESO_IbLb0EEEEDaSK_SL_EUlSK_E_NS1_11comp_targetILNS1_3genE10ELNS1_11target_archE1201ELNS1_3gpuE5ELNS1_3repE0EEENS1_30default_config_static_selectorELNS0_4arch9wavefront6targetE0EEEvT1_.uses_vcc, 0
	.set _ZN7rocprim17ROCPRIM_400000_NS6detail17trampoline_kernelINS0_14default_configENS1_20scan_config_selectorIjEEZZNS1_9scan_implILNS1_25lookback_scan_determinismE0ELb1ELb1ES3_PjS8_jN6hipcub16HIPCUB_304000_NS3SumEjEEDaPvRmT3_T4_T5_mT6_P12ihipStream_tbENKUlT_T0_E_clISt17integral_constantIbLb1EESO_IbLb0EEEEDaSK_SL_EUlSK_E_NS1_11comp_targetILNS1_3genE10ELNS1_11target_archE1201ELNS1_3gpuE5ELNS1_3repE0EEENS1_30default_config_static_selectorELNS0_4arch9wavefront6targetE0EEEvT1_.uses_flat_scratch, 0
	.set _ZN7rocprim17ROCPRIM_400000_NS6detail17trampoline_kernelINS0_14default_configENS1_20scan_config_selectorIjEEZZNS1_9scan_implILNS1_25lookback_scan_determinismE0ELb1ELb1ES3_PjS8_jN6hipcub16HIPCUB_304000_NS3SumEjEEDaPvRmT3_T4_T5_mT6_P12ihipStream_tbENKUlT_T0_E_clISt17integral_constantIbLb1EESO_IbLb0EEEEDaSK_SL_EUlSK_E_NS1_11comp_targetILNS1_3genE10ELNS1_11target_archE1201ELNS1_3gpuE5ELNS1_3repE0EEENS1_30default_config_static_selectorELNS0_4arch9wavefront6targetE0EEEvT1_.has_dyn_sized_stack, 0
	.set _ZN7rocprim17ROCPRIM_400000_NS6detail17trampoline_kernelINS0_14default_configENS1_20scan_config_selectorIjEEZZNS1_9scan_implILNS1_25lookback_scan_determinismE0ELb1ELb1ES3_PjS8_jN6hipcub16HIPCUB_304000_NS3SumEjEEDaPvRmT3_T4_T5_mT6_P12ihipStream_tbENKUlT_T0_E_clISt17integral_constantIbLb1EESO_IbLb0EEEEDaSK_SL_EUlSK_E_NS1_11comp_targetILNS1_3genE10ELNS1_11target_archE1201ELNS1_3gpuE5ELNS1_3repE0EEENS1_30default_config_static_selectorELNS0_4arch9wavefront6targetE0EEEvT1_.has_recursion, 0
	.set _ZN7rocprim17ROCPRIM_400000_NS6detail17trampoline_kernelINS0_14default_configENS1_20scan_config_selectorIjEEZZNS1_9scan_implILNS1_25lookback_scan_determinismE0ELb1ELb1ES3_PjS8_jN6hipcub16HIPCUB_304000_NS3SumEjEEDaPvRmT3_T4_T5_mT6_P12ihipStream_tbENKUlT_T0_E_clISt17integral_constantIbLb1EESO_IbLb0EEEEDaSK_SL_EUlSK_E_NS1_11comp_targetILNS1_3genE10ELNS1_11target_archE1201ELNS1_3gpuE5ELNS1_3repE0EEENS1_30default_config_static_selectorELNS0_4arch9wavefront6targetE0EEEvT1_.has_indirect_call, 0
	.section	.AMDGPU.csdata,"",@progbits
; Kernel info:
; codeLenInByte = 0
; TotalNumSgprs: 0
; NumVgprs: 0
; ScratchSize: 0
; MemoryBound: 0
; FloatMode: 240
; IeeeMode: 1
; LDSByteSize: 0 bytes/workgroup (compile time only)
; SGPRBlocks: 0
; VGPRBlocks: 0
; NumSGPRsForWavesPerEU: 1
; NumVGPRsForWavesPerEU: 1
; NamedBarCnt: 0
; Occupancy: 16
; WaveLimiterHint : 0
; COMPUTE_PGM_RSRC2:SCRATCH_EN: 0
; COMPUTE_PGM_RSRC2:USER_SGPR: 2
; COMPUTE_PGM_RSRC2:TRAP_HANDLER: 0
; COMPUTE_PGM_RSRC2:TGID_X_EN: 1
; COMPUTE_PGM_RSRC2:TGID_Y_EN: 0
; COMPUTE_PGM_RSRC2:TGID_Z_EN: 0
; COMPUTE_PGM_RSRC2:TIDIG_COMP_CNT: 0
	.section	.text._ZN7rocprim17ROCPRIM_400000_NS6detail17trampoline_kernelINS0_14default_configENS1_20scan_config_selectorIjEEZZNS1_9scan_implILNS1_25lookback_scan_determinismE0ELb1ELb1ES3_PjS8_jN6hipcub16HIPCUB_304000_NS3SumEjEEDaPvRmT3_T4_T5_mT6_P12ihipStream_tbENKUlT_T0_E_clISt17integral_constantIbLb1EESO_IbLb0EEEEDaSK_SL_EUlSK_E_NS1_11comp_targetILNS1_3genE10ELNS1_11target_archE1200ELNS1_3gpuE4ELNS1_3repE0EEENS1_30default_config_static_selectorELNS0_4arch9wavefront6targetE0EEEvT1_,"axG",@progbits,_ZN7rocprim17ROCPRIM_400000_NS6detail17trampoline_kernelINS0_14default_configENS1_20scan_config_selectorIjEEZZNS1_9scan_implILNS1_25lookback_scan_determinismE0ELb1ELb1ES3_PjS8_jN6hipcub16HIPCUB_304000_NS3SumEjEEDaPvRmT3_T4_T5_mT6_P12ihipStream_tbENKUlT_T0_E_clISt17integral_constantIbLb1EESO_IbLb0EEEEDaSK_SL_EUlSK_E_NS1_11comp_targetILNS1_3genE10ELNS1_11target_archE1200ELNS1_3gpuE4ELNS1_3repE0EEENS1_30default_config_static_selectorELNS0_4arch9wavefront6targetE0EEEvT1_,comdat
	.protected	_ZN7rocprim17ROCPRIM_400000_NS6detail17trampoline_kernelINS0_14default_configENS1_20scan_config_selectorIjEEZZNS1_9scan_implILNS1_25lookback_scan_determinismE0ELb1ELb1ES3_PjS8_jN6hipcub16HIPCUB_304000_NS3SumEjEEDaPvRmT3_T4_T5_mT6_P12ihipStream_tbENKUlT_T0_E_clISt17integral_constantIbLb1EESO_IbLb0EEEEDaSK_SL_EUlSK_E_NS1_11comp_targetILNS1_3genE10ELNS1_11target_archE1200ELNS1_3gpuE4ELNS1_3repE0EEENS1_30default_config_static_selectorELNS0_4arch9wavefront6targetE0EEEvT1_ ; -- Begin function _ZN7rocprim17ROCPRIM_400000_NS6detail17trampoline_kernelINS0_14default_configENS1_20scan_config_selectorIjEEZZNS1_9scan_implILNS1_25lookback_scan_determinismE0ELb1ELb1ES3_PjS8_jN6hipcub16HIPCUB_304000_NS3SumEjEEDaPvRmT3_T4_T5_mT6_P12ihipStream_tbENKUlT_T0_E_clISt17integral_constantIbLb1EESO_IbLb0EEEEDaSK_SL_EUlSK_E_NS1_11comp_targetILNS1_3genE10ELNS1_11target_archE1200ELNS1_3gpuE4ELNS1_3repE0EEENS1_30default_config_static_selectorELNS0_4arch9wavefront6targetE0EEEvT1_
	.globl	_ZN7rocprim17ROCPRIM_400000_NS6detail17trampoline_kernelINS0_14default_configENS1_20scan_config_selectorIjEEZZNS1_9scan_implILNS1_25lookback_scan_determinismE0ELb1ELb1ES3_PjS8_jN6hipcub16HIPCUB_304000_NS3SumEjEEDaPvRmT3_T4_T5_mT6_P12ihipStream_tbENKUlT_T0_E_clISt17integral_constantIbLb1EESO_IbLb0EEEEDaSK_SL_EUlSK_E_NS1_11comp_targetILNS1_3genE10ELNS1_11target_archE1200ELNS1_3gpuE4ELNS1_3repE0EEENS1_30default_config_static_selectorELNS0_4arch9wavefront6targetE0EEEvT1_
	.p2align	8
	.type	_ZN7rocprim17ROCPRIM_400000_NS6detail17trampoline_kernelINS0_14default_configENS1_20scan_config_selectorIjEEZZNS1_9scan_implILNS1_25lookback_scan_determinismE0ELb1ELb1ES3_PjS8_jN6hipcub16HIPCUB_304000_NS3SumEjEEDaPvRmT3_T4_T5_mT6_P12ihipStream_tbENKUlT_T0_E_clISt17integral_constantIbLb1EESO_IbLb0EEEEDaSK_SL_EUlSK_E_NS1_11comp_targetILNS1_3genE10ELNS1_11target_archE1200ELNS1_3gpuE4ELNS1_3repE0EEENS1_30default_config_static_selectorELNS0_4arch9wavefront6targetE0EEEvT1_,@function
_ZN7rocprim17ROCPRIM_400000_NS6detail17trampoline_kernelINS0_14default_configENS1_20scan_config_selectorIjEEZZNS1_9scan_implILNS1_25lookback_scan_determinismE0ELb1ELb1ES3_PjS8_jN6hipcub16HIPCUB_304000_NS3SumEjEEDaPvRmT3_T4_T5_mT6_P12ihipStream_tbENKUlT_T0_E_clISt17integral_constantIbLb1EESO_IbLb0EEEEDaSK_SL_EUlSK_E_NS1_11comp_targetILNS1_3genE10ELNS1_11target_archE1200ELNS1_3gpuE4ELNS1_3repE0EEENS1_30default_config_static_selectorELNS0_4arch9wavefront6targetE0EEEvT1_: ; @_ZN7rocprim17ROCPRIM_400000_NS6detail17trampoline_kernelINS0_14default_configENS1_20scan_config_selectorIjEEZZNS1_9scan_implILNS1_25lookback_scan_determinismE0ELb1ELb1ES3_PjS8_jN6hipcub16HIPCUB_304000_NS3SumEjEEDaPvRmT3_T4_T5_mT6_P12ihipStream_tbENKUlT_T0_E_clISt17integral_constantIbLb1EESO_IbLb0EEEEDaSK_SL_EUlSK_E_NS1_11comp_targetILNS1_3genE10ELNS1_11target_archE1200ELNS1_3gpuE4ELNS1_3repE0EEENS1_30default_config_static_selectorELNS0_4arch9wavefront6targetE0EEEvT1_
; %bb.0:
	.section	.rodata,"a",@progbits
	.p2align	6, 0x0
	.amdhsa_kernel _ZN7rocprim17ROCPRIM_400000_NS6detail17trampoline_kernelINS0_14default_configENS1_20scan_config_selectorIjEEZZNS1_9scan_implILNS1_25lookback_scan_determinismE0ELb1ELb1ES3_PjS8_jN6hipcub16HIPCUB_304000_NS3SumEjEEDaPvRmT3_T4_T5_mT6_P12ihipStream_tbENKUlT_T0_E_clISt17integral_constantIbLb1EESO_IbLb0EEEEDaSK_SL_EUlSK_E_NS1_11comp_targetILNS1_3genE10ELNS1_11target_archE1200ELNS1_3gpuE4ELNS1_3repE0EEENS1_30default_config_static_selectorELNS0_4arch9wavefront6targetE0EEEvT1_
		.amdhsa_group_segment_fixed_size 0
		.amdhsa_private_segment_fixed_size 0
		.amdhsa_kernarg_size 96
		.amdhsa_user_sgpr_count 2
		.amdhsa_user_sgpr_dispatch_ptr 0
		.amdhsa_user_sgpr_queue_ptr 0
		.amdhsa_user_sgpr_kernarg_segment_ptr 1
		.amdhsa_user_sgpr_dispatch_id 0
		.amdhsa_user_sgpr_kernarg_preload_length 0
		.amdhsa_user_sgpr_kernarg_preload_offset 0
		.amdhsa_user_sgpr_private_segment_size 0
		.amdhsa_wavefront_size32 1
		.amdhsa_uses_dynamic_stack 0
		.amdhsa_enable_private_segment 0
		.amdhsa_system_sgpr_workgroup_id_x 1
		.amdhsa_system_sgpr_workgroup_id_y 0
		.amdhsa_system_sgpr_workgroup_id_z 0
		.amdhsa_system_sgpr_workgroup_info 0
		.amdhsa_system_vgpr_workitem_id 0
		.amdhsa_next_free_vgpr 1
		.amdhsa_next_free_sgpr 1
		.amdhsa_named_barrier_count 0
		.amdhsa_reserve_vcc 0
		.amdhsa_float_round_mode_32 0
		.amdhsa_float_round_mode_16_64 0
		.amdhsa_float_denorm_mode_32 3
		.amdhsa_float_denorm_mode_16_64 3
		.amdhsa_fp16_overflow 0
		.amdhsa_memory_ordered 1
		.amdhsa_forward_progress 1
		.amdhsa_inst_pref_size 0
		.amdhsa_round_robin_scheduling 0
		.amdhsa_exception_fp_ieee_invalid_op 0
		.amdhsa_exception_fp_denorm_src 0
		.amdhsa_exception_fp_ieee_div_zero 0
		.amdhsa_exception_fp_ieee_overflow 0
		.amdhsa_exception_fp_ieee_underflow 0
		.amdhsa_exception_fp_ieee_inexact 0
		.amdhsa_exception_int_div_zero 0
	.end_amdhsa_kernel
	.section	.text._ZN7rocprim17ROCPRIM_400000_NS6detail17trampoline_kernelINS0_14default_configENS1_20scan_config_selectorIjEEZZNS1_9scan_implILNS1_25lookback_scan_determinismE0ELb1ELb1ES3_PjS8_jN6hipcub16HIPCUB_304000_NS3SumEjEEDaPvRmT3_T4_T5_mT6_P12ihipStream_tbENKUlT_T0_E_clISt17integral_constantIbLb1EESO_IbLb0EEEEDaSK_SL_EUlSK_E_NS1_11comp_targetILNS1_3genE10ELNS1_11target_archE1200ELNS1_3gpuE4ELNS1_3repE0EEENS1_30default_config_static_selectorELNS0_4arch9wavefront6targetE0EEEvT1_,"axG",@progbits,_ZN7rocprim17ROCPRIM_400000_NS6detail17trampoline_kernelINS0_14default_configENS1_20scan_config_selectorIjEEZZNS1_9scan_implILNS1_25lookback_scan_determinismE0ELb1ELb1ES3_PjS8_jN6hipcub16HIPCUB_304000_NS3SumEjEEDaPvRmT3_T4_T5_mT6_P12ihipStream_tbENKUlT_T0_E_clISt17integral_constantIbLb1EESO_IbLb0EEEEDaSK_SL_EUlSK_E_NS1_11comp_targetILNS1_3genE10ELNS1_11target_archE1200ELNS1_3gpuE4ELNS1_3repE0EEENS1_30default_config_static_selectorELNS0_4arch9wavefront6targetE0EEEvT1_,comdat
.Lfunc_end54:
	.size	_ZN7rocprim17ROCPRIM_400000_NS6detail17trampoline_kernelINS0_14default_configENS1_20scan_config_selectorIjEEZZNS1_9scan_implILNS1_25lookback_scan_determinismE0ELb1ELb1ES3_PjS8_jN6hipcub16HIPCUB_304000_NS3SumEjEEDaPvRmT3_T4_T5_mT6_P12ihipStream_tbENKUlT_T0_E_clISt17integral_constantIbLb1EESO_IbLb0EEEEDaSK_SL_EUlSK_E_NS1_11comp_targetILNS1_3genE10ELNS1_11target_archE1200ELNS1_3gpuE4ELNS1_3repE0EEENS1_30default_config_static_selectorELNS0_4arch9wavefront6targetE0EEEvT1_, .Lfunc_end54-_ZN7rocprim17ROCPRIM_400000_NS6detail17trampoline_kernelINS0_14default_configENS1_20scan_config_selectorIjEEZZNS1_9scan_implILNS1_25lookback_scan_determinismE0ELb1ELb1ES3_PjS8_jN6hipcub16HIPCUB_304000_NS3SumEjEEDaPvRmT3_T4_T5_mT6_P12ihipStream_tbENKUlT_T0_E_clISt17integral_constantIbLb1EESO_IbLb0EEEEDaSK_SL_EUlSK_E_NS1_11comp_targetILNS1_3genE10ELNS1_11target_archE1200ELNS1_3gpuE4ELNS1_3repE0EEENS1_30default_config_static_selectorELNS0_4arch9wavefront6targetE0EEEvT1_
                                        ; -- End function
	.set _ZN7rocprim17ROCPRIM_400000_NS6detail17trampoline_kernelINS0_14default_configENS1_20scan_config_selectorIjEEZZNS1_9scan_implILNS1_25lookback_scan_determinismE0ELb1ELb1ES3_PjS8_jN6hipcub16HIPCUB_304000_NS3SumEjEEDaPvRmT3_T4_T5_mT6_P12ihipStream_tbENKUlT_T0_E_clISt17integral_constantIbLb1EESO_IbLb0EEEEDaSK_SL_EUlSK_E_NS1_11comp_targetILNS1_3genE10ELNS1_11target_archE1200ELNS1_3gpuE4ELNS1_3repE0EEENS1_30default_config_static_selectorELNS0_4arch9wavefront6targetE0EEEvT1_.num_vgpr, 0
	.set _ZN7rocprim17ROCPRIM_400000_NS6detail17trampoline_kernelINS0_14default_configENS1_20scan_config_selectorIjEEZZNS1_9scan_implILNS1_25lookback_scan_determinismE0ELb1ELb1ES3_PjS8_jN6hipcub16HIPCUB_304000_NS3SumEjEEDaPvRmT3_T4_T5_mT6_P12ihipStream_tbENKUlT_T0_E_clISt17integral_constantIbLb1EESO_IbLb0EEEEDaSK_SL_EUlSK_E_NS1_11comp_targetILNS1_3genE10ELNS1_11target_archE1200ELNS1_3gpuE4ELNS1_3repE0EEENS1_30default_config_static_selectorELNS0_4arch9wavefront6targetE0EEEvT1_.num_agpr, 0
	.set _ZN7rocprim17ROCPRIM_400000_NS6detail17trampoline_kernelINS0_14default_configENS1_20scan_config_selectorIjEEZZNS1_9scan_implILNS1_25lookback_scan_determinismE0ELb1ELb1ES3_PjS8_jN6hipcub16HIPCUB_304000_NS3SumEjEEDaPvRmT3_T4_T5_mT6_P12ihipStream_tbENKUlT_T0_E_clISt17integral_constantIbLb1EESO_IbLb0EEEEDaSK_SL_EUlSK_E_NS1_11comp_targetILNS1_3genE10ELNS1_11target_archE1200ELNS1_3gpuE4ELNS1_3repE0EEENS1_30default_config_static_selectorELNS0_4arch9wavefront6targetE0EEEvT1_.numbered_sgpr, 0
	.set _ZN7rocprim17ROCPRIM_400000_NS6detail17trampoline_kernelINS0_14default_configENS1_20scan_config_selectorIjEEZZNS1_9scan_implILNS1_25lookback_scan_determinismE0ELb1ELb1ES3_PjS8_jN6hipcub16HIPCUB_304000_NS3SumEjEEDaPvRmT3_T4_T5_mT6_P12ihipStream_tbENKUlT_T0_E_clISt17integral_constantIbLb1EESO_IbLb0EEEEDaSK_SL_EUlSK_E_NS1_11comp_targetILNS1_3genE10ELNS1_11target_archE1200ELNS1_3gpuE4ELNS1_3repE0EEENS1_30default_config_static_selectorELNS0_4arch9wavefront6targetE0EEEvT1_.num_named_barrier, 0
	.set _ZN7rocprim17ROCPRIM_400000_NS6detail17trampoline_kernelINS0_14default_configENS1_20scan_config_selectorIjEEZZNS1_9scan_implILNS1_25lookback_scan_determinismE0ELb1ELb1ES3_PjS8_jN6hipcub16HIPCUB_304000_NS3SumEjEEDaPvRmT3_T4_T5_mT6_P12ihipStream_tbENKUlT_T0_E_clISt17integral_constantIbLb1EESO_IbLb0EEEEDaSK_SL_EUlSK_E_NS1_11comp_targetILNS1_3genE10ELNS1_11target_archE1200ELNS1_3gpuE4ELNS1_3repE0EEENS1_30default_config_static_selectorELNS0_4arch9wavefront6targetE0EEEvT1_.private_seg_size, 0
	.set _ZN7rocprim17ROCPRIM_400000_NS6detail17trampoline_kernelINS0_14default_configENS1_20scan_config_selectorIjEEZZNS1_9scan_implILNS1_25lookback_scan_determinismE0ELb1ELb1ES3_PjS8_jN6hipcub16HIPCUB_304000_NS3SumEjEEDaPvRmT3_T4_T5_mT6_P12ihipStream_tbENKUlT_T0_E_clISt17integral_constantIbLb1EESO_IbLb0EEEEDaSK_SL_EUlSK_E_NS1_11comp_targetILNS1_3genE10ELNS1_11target_archE1200ELNS1_3gpuE4ELNS1_3repE0EEENS1_30default_config_static_selectorELNS0_4arch9wavefront6targetE0EEEvT1_.uses_vcc, 0
	.set _ZN7rocprim17ROCPRIM_400000_NS6detail17trampoline_kernelINS0_14default_configENS1_20scan_config_selectorIjEEZZNS1_9scan_implILNS1_25lookback_scan_determinismE0ELb1ELb1ES3_PjS8_jN6hipcub16HIPCUB_304000_NS3SumEjEEDaPvRmT3_T4_T5_mT6_P12ihipStream_tbENKUlT_T0_E_clISt17integral_constantIbLb1EESO_IbLb0EEEEDaSK_SL_EUlSK_E_NS1_11comp_targetILNS1_3genE10ELNS1_11target_archE1200ELNS1_3gpuE4ELNS1_3repE0EEENS1_30default_config_static_selectorELNS0_4arch9wavefront6targetE0EEEvT1_.uses_flat_scratch, 0
	.set _ZN7rocprim17ROCPRIM_400000_NS6detail17trampoline_kernelINS0_14default_configENS1_20scan_config_selectorIjEEZZNS1_9scan_implILNS1_25lookback_scan_determinismE0ELb1ELb1ES3_PjS8_jN6hipcub16HIPCUB_304000_NS3SumEjEEDaPvRmT3_T4_T5_mT6_P12ihipStream_tbENKUlT_T0_E_clISt17integral_constantIbLb1EESO_IbLb0EEEEDaSK_SL_EUlSK_E_NS1_11comp_targetILNS1_3genE10ELNS1_11target_archE1200ELNS1_3gpuE4ELNS1_3repE0EEENS1_30default_config_static_selectorELNS0_4arch9wavefront6targetE0EEEvT1_.has_dyn_sized_stack, 0
	.set _ZN7rocprim17ROCPRIM_400000_NS6detail17trampoline_kernelINS0_14default_configENS1_20scan_config_selectorIjEEZZNS1_9scan_implILNS1_25lookback_scan_determinismE0ELb1ELb1ES3_PjS8_jN6hipcub16HIPCUB_304000_NS3SumEjEEDaPvRmT3_T4_T5_mT6_P12ihipStream_tbENKUlT_T0_E_clISt17integral_constantIbLb1EESO_IbLb0EEEEDaSK_SL_EUlSK_E_NS1_11comp_targetILNS1_3genE10ELNS1_11target_archE1200ELNS1_3gpuE4ELNS1_3repE0EEENS1_30default_config_static_selectorELNS0_4arch9wavefront6targetE0EEEvT1_.has_recursion, 0
	.set _ZN7rocprim17ROCPRIM_400000_NS6detail17trampoline_kernelINS0_14default_configENS1_20scan_config_selectorIjEEZZNS1_9scan_implILNS1_25lookback_scan_determinismE0ELb1ELb1ES3_PjS8_jN6hipcub16HIPCUB_304000_NS3SumEjEEDaPvRmT3_T4_T5_mT6_P12ihipStream_tbENKUlT_T0_E_clISt17integral_constantIbLb1EESO_IbLb0EEEEDaSK_SL_EUlSK_E_NS1_11comp_targetILNS1_3genE10ELNS1_11target_archE1200ELNS1_3gpuE4ELNS1_3repE0EEENS1_30default_config_static_selectorELNS0_4arch9wavefront6targetE0EEEvT1_.has_indirect_call, 0
	.section	.AMDGPU.csdata,"",@progbits
; Kernel info:
; codeLenInByte = 0
; TotalNumSgprs: 0
; NumVgprs: 0
; ScratchSize: 0
; MemoryBound: 0
; FloatMode: 240
; IeeeMode: 1
; LDSByteSize: 0 bytes/workgroup (compile time only)
; SGPRBlocks: 0
; VGPRBlocks: 0
; NumSGPRsForWavesPerEU: 1
; NumVGPRsForWavesPerEU: 1
; NamedBarCnt: 0
; Occupancy: 16
; WaveLimiterHint : 0
; COMPUTE_PGM_RSRC2:SCRATCH_EN: 0
; COMPUTE_PGM_RSRC2:USER_SGPR: 2
; COMPUTE_PGM_RSRC2:TRAP_HANDLER: 0
; COMPUTE_PGM_RSRC2:TGID_X_EN: 1
; COMPUTE_PGM_RSRC2:TGID_Y_EN: 0
; COMPUTE_PGM_RSRC2:TGID_Z_EN: 0
; COMPUTE_PGM_RSRC2:TIDIG_COMP_CNT: 0
	.section	.text._ZN7rocprim17ROCPRIM_400000_NS6detail17trampoline_kernelINS0_14default_configENS1_20scan_config_selectorIjEEZZNS1_9scan_implILNS1_25lookback_scan_determinismE0ELb1ELb1ES3_PjS8_jN6hipcub16HIPCUB_304000_NS3SumEjEEDaPvRmT3_T4_T5_mT6_P12ihipStream_tbENKUlT_T0_E_clISt17integral_constantIbLb1EESO_IbLb0EEEEDaSK_SL_EUlSK_E_NS1_11comp_targetILNS1_3genE9ELNS1_11target_archE1100ELNS1_3gpuE3ELNS1_3repE0EEENS1_30default_config_static_selectorELNS0_4arch9wavefront6targetE0EEEvT1_,"axG",@progbits,_ZN7rocprim17ROCPRIM_400000_NS6detail17trampoline_kernelINS0_14default_configENS1_20scan_config_selectorIjEEZZNS1_9scan_implILNS1_25lookback_scan_determinismE0ELb1ELb1ES3_PjS8_jN6hipcub16HIPCUB_304000_NS3SumEjEEDaPvRmT3_T4_T5_mT6_P12ihipStream_tbENKUlT_T0_E_clISt17integral_constantIbLb1EESO_IbLb0EEEEDaSK_SL_EUlSK_E_NS1_11comp_targetILNS1_3genE9ELNS1_11target_archE1100ELNS1_3gpuE3ELNS1_3repE0EEENS1_30default_config_static_selectorELNS0_4arch9wavefront6targetE0EEEvT1_,comdat
	.protected	_ZN7rocprim17ROCPRIM_400000_NS6detail17trampoline_kernelINS0_14default_configENS1_20scan_config_selectorIjEEZZNS1_9scan_implILNS1_25lookback_scan_determinismE0ELb1ELb1ES3_PjS8_jN6hipcub16HIPCUB_304000_NS3SumEjEEDaPvRmT3_T4_T5_mT6_P12ihipStream_tbENKUlT_T0_E_clISt17integral_constantIbLb1EESO_IbLb0EEEEDaSK_SL_EUlSK_E_NS1_11comp_targetILNS1_3genE9ELNS1_11target_archE1100ELNS1_3gpuE3ELNS1_3repE0EEENS1_30default_config_static_selectorELNS0_4arch9wavefront6targetE0EEEvT1_ ; -- Begin function _ZN7rocprim17ROCPRIM_400000_NS6detail17trampoline_kernelINS0_14default_configENS1_20scan_config_selectorIjEEZZNS1_9scan_implILNS1_25lookback_scan_determinismE0ELb1ELb1ES3_PjS8_jN6hipcub16HIPCUB_304000_NS3SumEjEEDaPvRmT3_T4_T5_mT6_P12ihipStream_tbENKUlT_T0_E_clISt17integral_constantIbLb1EESO_IbLb0EEEEDaSK_SL_EUlSK_E_NS1_11comp_targetILNS1_3genE9ELNS1_11target_archE1100ELNS1_3gpuE3ELNS1_3repE0EEENS1_30default_config_static_selectorELNS0_4arch9wavefront6targetE0EEEvT1_
	.globl	_ZN7rocprim17ROCPRIM_400000_NS6detail17trampoline_kernelINS0_14default_configENS1_20scan_config_selectorIjEEZZNS1_9scan_implILNS1_25lookback_scan_determinismE0ELb1ELb1ES3_PjS8_jN6hipcub16HIPCUB_304000_NS3SumEjEEDaPvRmT3_T4_T5_mT6_P12ihipStream_tbENKUlT_T0_E_clISt17integral_constantIbLb1EESO_IbLb0EEEEDaSK_SL_EUlSK_E_NS1_11comp_targetILNS1_3genE9ELNS1_11target_archE1100ELNS1_3gpuE3ELNS1_3repE0EEENS1_30default_config_static_selectorELNS0_4arch9wavefront6targetE0EEEvT1_
	.p2align	8
	.type	_ZN7rocprim17ROCPRIM_400000_NS6detail17trampoline_kernelINS0_14default_configENS1_20scan_config_selectorIjEEZZNS1_9scan_implILNS1_25lookback_scan_determinismE0ELb1ELb1ES3_PjS8_jN6hipcub16HIPCUB_304000_NS3SumEjEEDaPvRmT3_T4_T5_mT6_P12ihipStream_tbENKUlT_T0_E_clISt17integral_constantIbLb1EESO_IbLb0EEEEDaSK_SL_EUlSK_E_NS1_11comp_targetILNS1_3genE9ELNS1_11target_archE1100ELNS1_3gpuE3ELNS1_3repE0EEENS1_30default_config_static_selectorELNS0_4arch9wavefront6targetE0EEEvT1_,@function
_ZN7rocprim17ROCPRIM_400000_NS6detail17trampoline_kernelINS0_14default_configENS1_20scan_config_selectorIjEEZZNS1_9scan_implILNS1_25lookback_scan_determinismE0ELb1ELb1ES3_PjS8_jN6hipcub16HIPCUB_304000_NS3SumEjEEDaPvRmT3_T4_T5_mT6_P12ihipStream_tbENKUlT_T0_E_clISt17integral_constantIbLb1EESO_IbLb0EEEEDaSK_SL_EUlSK_E_NS1_11comp_targetILNS1_3genE9ELNS1_11target_archE1100ELNS1_3gpuE3ELNS1_3repE0EEENS1_30default_config_static_selectorELNS0_4arch9wavefront6targetE0EEEvT1_: ; @_ZN7rocprim17ROCPRIM_400000_NS6detail17trampoline_kernelINS0_14default_configENS1_20scan_config_selectorIjEEZZNS1_9scan_implILNS1_25lookback_scan_determinismE0ELb1ELb1ES3_PjS8_jN6hipcub16HIPCUB_304000_NS3SumEjEEDaPvRmT3_T4_T5_mT6_P12ihipStream_tbENKUlT_T0_E_clISt17integral_constantIbLb1EESO_IbLb0EEEEDaSK_SL_EUlSK_E_NS1_11comp_targetILNS1_3genE9ELNS1_11target_archE1100ELNS1_3gpuE3ELNS1_3repE0EEENS1_30default_config_static_selectorELNS0_4arch9wavefront6targetE0EEEvT1_
; %bb.0:
	.section	.rodata,"a",@progbits
	.p2align	6, 0x0
	.amdhsa_kernel _ZN7rocprim17ROCPRIM_400000_NS6detail17trampoline_kernelINS0_14default_configENS1_20scan_config_selectorIjEEZZNS1_9scan_implILNS1_25lookback_scan_determinismE0ELb1ELb1ES3_PjS8_jN6hipcub16HIPCUB_304000_NS3SumEjEEDaPvRmT3_T4_T5_mT6_P12ihipStream_tbENKUlT_T0_E_clISt17integral_constantIbLb1EESO_IbLb0EEEEDaSK_SL_EUlSK_E_NS1_11comp_targetILNS1_3genE9ELNS1_11target_archE1100ELNS1_3gpuE3ELNS1_3repE0EEENS1_30default_config_static_selectorELNS0_4arch9wavefront6targetE0EEEvT1_
		.amdhsa_group_segment_fixed_size 0
		.amdhsa_private_segment_fixed_size 0
		.amdhsa_kernarg_size 96
		.amdhsa_user_sgpr_count 2
		.amdhsa_user_sgpr_dispatch_ptr 0
		.amdhsa_user_sgpr_queue_ptr 0
		.amdhsa_user_sgpr_kernarg_segment_ptr 1
		.amdhsa_user_sgpr_dispatch_id 0
		.amdhsa_user_sgpr_kernarg_preload_length 0
		.amdhsa_user_sgpr_kernarg_preload_offset 0
		.amdhsa_user_sgpr_private_segment_size 0
		.amdhsa_wavefront_size32 1
		.amdhsa_uses_dynamic_stack 0
		.amdhsa_enable_private_segment 0
		.amdhsa_system_sgpr_workgroup_id_x 1
		.amdhsa_system_sgpr_workgroup_id_y 0
		.amdhsa_system_sgpr_workgroup_id_z 0
		.amdhsa_system_sgpr_workgroup_info 0
		.amdhsa_system_vgpr_workitem_id 0
		.amdhsa_next_free_vgpr 1
		.amdhsa_next_free_sgpr 1
		.amdhsa_named_barrier_count 0
		.amdhsa_reserve_vcc 0
		.amdhsa_float_round_mode_32 0
		.amdhsa_float_round_mode_16_64 0
		.amdhsa_float_denorm_mode_32 3
		.amdhsa_float_denorm_mode_16_64 3
		.amdhsa_fp16_overflow 0
		.amdhsa_memory_ordered 1
		.amdhsa_forward_progress 1
		.amdhsa_inst_pref_size 0
		.amdhsa_round_robin_scheduling 0
		.amdhsa_exception_fp_ieee_invalid_op 0
		.amdhsa_exception_fp_denorm_src 0
		.amdhsa_exception_fp_ieee_div_zero 0
		.amdhsa_exception_fp_ieee_overflow 0
		.amdhsa_exception_fp_ieee_underflow 0
		.amdhsa_exception_fp_ieee_inexact 0
		.amdhsa_exception_int_div_zero 0
	.end_amdhsa_kernel
	.section	.text._ZN7rocprim17ROCPRIM_400000_NS6detail17trampoline_kernelINS0_14default_configENS1_20scan_config_selectorIjEEZZNS1_9scan_implILNS1_25lookback_scan_determinismE0ELb1ELb1ES3_PjS8_jN6hipcub16HIPCUB_304000_NS3SumEjEEDaPvRmT3_T4_T5_mT6_P12ihipStream_tbENKUlT_T0_E_clISt17integral_constantIbLb1EESO_IbLb0EEEEDaSK_SL_EUlSK_E_NS1_11comp_targetILNS1_3genE9ELNS1_11target_archE1100ELNS1_3gpuE3ELNS1_3repE0EEENS1_30default_config_static_selectorELNS0_4arch9wavefront6targetE0EEEvT1_,"axG",@progbits,_ZN7rocprim17ROCPRIM_400000_NS6detail17trampoline_kernelINS0_14default_configENS1_20scan_config_selectorIjEEZZNS1_9scan_implILNS1_25lookback_scan_determinismE0ELb1ELb1ES3_PjS8_jN6hipcub16HIPCUB_304000_NS3SumEjEEDaPvRmT3_T4_T5_mT6_P12ihipStream_tbENKUlT_T0_E_clISt17integral_constantIbLb1EESO_IbLb0EEEEDaSK_SL_EUlSK_E_NS1_11comp_targetILNS1_3genE9ELNS1_11target_archE1100ELNS1_3gpuE3ELNS1_3repE0EEENS1_30default_config_static_selectorELNS0_4arch9wavefront6targetE0EEEvT1_,comdat
.Lfunc_end55:
	.size	_ZN7rocprim17ROCPRIM_400000_NS6detail17trampoline_kernelINS0_14default_configENS1_20scan_config_selectorIjEEZZNS1_9scan_implILNS1_25lookback_scan_determinismE0ELb1ELb1ES3_PjS8_jN6hipcub16HIPCUB_304000_NS3SumEjEEDaPvRmT3_T4_T5_mT6_P12ihipStream_tbENKUlT_T0_E_clISt17integral_constantIbLb1EESO_IbLb0EEEEDaSK_SL_EUlSK_E_NS1_11comp_targetILNS1_3genE9ELNS1_11target_archE1100ELNS1_3gpuE3ELNS1_3repE0EEENS1_30default_config_static_selectorELNS0_4arch9wavefront6targetE0EEEvT1_, .Lfunc_end55-_ZN7rocprim17ROCPRIM_400000_NS6detail17trampoline_kernelINS0_14default_configENS1_20scan_config_selectorIjEEZZNS1_9scan_implILNS1_25lookback_scan_determinismE0ELb1ELb1ES3_PjS8_jN6hipcub16HIPCUB_304000_NS3SumEjEEDaPvRmT3_T4_T5_mT6_P12ihipStream_tbENKUlT_T0_E_clISt17integral_constantIbLb1EESO_IbLb0EEEEDaSK_SL_EUlSK_E_NS1_11comp_targetILNS1_3genE9ELNS1_11target_archE1100ELNS1_3gpuE3ELNS1_3repE0EEENS1_30default_config_static_selectorELNS0_4arch9wavefront6targetE0EEEvT1_
                                        ; -- End function
	.set _ZN7rocprim17ROCPRIM_400000_NS6detail17trampoline_kernelINS0_14default_configENS1_20scan_config_selectorIjEEZZNS1_9scan_implILNS1_25lookback_scan_determinismE0ELb1ELb1ES3_PjS8_jN6hipcub16HIPCUB_304000_NS3SumEjEEDaPvRmT3_T4_T5_mT6_P12ihipStream_tbENKUlT_T0_E_clISt17integral_constantIbLb1EESO_IbLb0EEEEDaSK_SL_EUlSK_E_NS1_11comp_targetILNS1_3genE9ELNS1_11target_archE1100ELNS1_3gpuE3ELNS1_3repE0EEENS1_30default_config_static_selectorELNS0_4arch9wavefront6targetE0EEEvT1_.num_vgpr, 0
	.set _ZN7rocprim17ROCPRIM_400000_NS6detail17trampoline_kernelINS0_14default_configENS1_20scan_config_selectorIjEEZZNS1_9scan_implILNS1_25lookback_scan_determinismE0ELb1ELb1ES3_PjS8_jN6hipcub16HIPCUB_304000_NS3SumEjEEDaPvRmT3_T4_T5_mT6_P12ihipStream_tbENKUlT_T0_E_clISt17integral_constantIbLb1EESO_IbLb0EEEEDaSK_SL_EUlSK_E_NS1_11comp_targetILNS1_3genE9ELNS1_11target_archE1100ELNS1_3gpuE3ELNS1_3repE0EEENS1_30default_config_static_selectorELNS0_4arch9wavefront6targetE0EEEvT1_.num_agpr, 0
	.set _ZN7rocprim17ROCPRIM_400000_NS6detail17trampoline_kernelINS0_14default_configENS1_20scan_config_selectorIjEEZZNS1_9scan_implILNS1_25lookback_scan_determinismE0ELb1ELb1ES3_PjS8_jN6hipcub16HIPCUB_304000_NS3SumEjEEDaPvRmT3_T4_T5_mT6_P12ihipStream_tbENKUlT_T0_E_clISt17integral_constantIbLb1EESO_IbLb0EEEEDaSK_SL_EUlSK_E_NS1_11comp_targetILNS1_3genE9ELNS1_11target_archE1100ELNS1_3gpuE3ELNS1_3repE0EEENS1_30default_config_static_selectorELNS0_4arch9wavefront6targetE0EEEvT1_.numbered_sgpr, 0
	.set _ZN7rocprim17ROCPRIM_400000_NS6detail17trampoline_kernelINS0_14default_configENS1_20scan_config_selectorIjEEZZNS1_9scan_implILNS1_25lookback_scan_determinismE0ELb1ELb1ES3_PjS8_jN6hipcub16HIPCUB_304000_NS3SumEjEEDaPvRmT3_T4_T5_mT6_P12ihipStream_tbENKUlT_T0_E_clISt17integral_constantIbLb1EESO_IbLb0EEEEDaSK_SL_EUlSK_E_NS1_11comp_targetILNS1_3genE9ELNS1_11target_archE1100ELNS1_3gpuE3ELNS1_3repE0EEENS1_30default_config_static_selectorELNS0_4arch9wavefront6targetE0EEEvT1_.num_named_barrier, 0
	.set _ZN7rocprim17ROCPRIM_400000_NS6detail17trampoline_kernelINS0_14default_configENS1_20scan_config_selectorIjEEZZNS1_9scan_implILNS1_25lookback_scan_determinismE0ELb1ELb1ES3_PjS8_jN6hipcub16HIPCUB_304000_NS3SumEjEEDaPvRmT3_T4_T5_mT6_P12ihipStream_tbENKUlT_T0_E_clISt17integral_constantIbLb1EESO_IbLb0EEEEDaSK_SL_EUlSK_E_NS1_11comp_targetILNS1_3genE9ELNS1_11target_archE1100ELNS1_3gpuE3ELNS1_3repE0EEENS1_30default_config_static_selectorELNS0_4arch9wavefront6targetE0EEEvT1_.private_seg_size, 0
	.set _ZN7rocprim17ROCPRIM_400000_NS6detail17trampoline_kernelINS0_14default_configENS1_20scan_config_selectorIjEEZZNS1_9scan_implILNS1_25lookback_scan_determinismE0ELb1ELb1ES3_PjS8_jN6hipcub16HIPCUB_304000_NS3SumEjEEDaPvRmT3_T4_T5_mT6_P12ihipStream_tbENKUlT_T0_E_clISt17integral_constantIbLb1EESO_IbLb0EEEEDaSK_SL_EUlSK_E_NS1_11comp_targetILNS1_3genE9ELNS1_11target_archE1100ELNS1_3gpuE3ELNS1_3repE0EEENS1_30default_config_static_selectorELNS0_4arch9wavefront6targetE0EEEvT1_.uses_vcc, 0
	.set _ZN7rocprim17ROCPRIM_400000_NS6detail17trampoline_kernelINS0_14default_configENS1_20scan_config_selectorIjEEZZNS1_9scan_implILNS1_25lookback_scan_determinismE0ELb1ELb1ES3_PjS8_jN6hipcub16HIPCUB_304000_NS3SumEjEEDaPvRmT3_T4_T5_mT6_P12ihipStream_tbENKUlT_T0_E_clISt17integral_constantIbLb1EESO_IbLb0EEEEDaSK_SL_EUlSK_E_NS1_11comp_targetILNS1_3genE9ELNS1_11target_archE1100ELNS1_3gpuE3ELNS1_3repE0EEENS1_30default_config_static_selectorELNS0_4arch9wavefront6targetE0EEEvT1_.uses_flat_scratch, 0
	.set _ZN7rocprim17ROCPRIM_400000_NS6detail17trampoline_kernelINS0_14default_configENS1_20scan_config_selectorIjEEZZNS1_9scan_implILNS1_25lookback_scan_determinismE0ELb1ELb1ES3_PjS8_jN6hipcub16HIPCUB_304000_NS3SumEjEEDaPvRmT3_T4_T5_mT6_P12ihipStream_tbENKUlT_T0_E_clISt17integral_constantIbLb1EESO_IbLb0EEEEDaSK_SL_EUlSK_E_NS1_11comp_targetILNS1_3genE9ELNS1_11target_archE1100ELNS1_3gpuE3ELNS1_3repE0EEENS1_30default_config_static_selectorELNS0_4arch9wavefront6targetE0EEEvT1_.has_dyn_sized_stack, 0
	.set _ZN7rocprim17ROCPRIM_400000_NS6detail17trampoline_kernelINS0_14default_configENS1_20scan_config_selectorIjEEZZNS1_9scan_implILNS1_25lookback_scan_determinismE0ELb1ELb1ES3_PjS8_jN6hipcub16HIPCUB_304000_NS3SumEjEEDaPvRmT3_T4_T5_mT6_P12ihipStream_tbENKUlT_T0_E_clISt17integral_constantIbLb1EESO_IbLb0EEEEDaSK_SL_EUlSK_E_NS1_11comp_targetILNS1_3genE9ELNS1_11target_archE1100ELNS1_3gpuE3ELNS1_3repE0EEENS1_30default_config_static_selectorELNS0_4arch9wavefront6targetE0EEEvT1_.has_recursion, 0
	.set _ZN7rocprim17ROCPRIM_400000_NS6detail17trampoline_kernelINS0_14default_configENS1_20scan_config_selectorIjEEZZNS1_9scan_implILNS1_25lookback_scan_determinismE0ELb1ELb1ES3_PjS8_jN6hipcub16HIPCUB_304000_NS3SumEjEEDaPvRmT3_T4_T5_mT6_P12ihipStream_tbENKUlT_T0_E_clISt17integral_constantIbLb1EESO_IbLb0EEEEDaSK_SL_EUlSK_E_NS1_11comp_targetILNS1_3genE9ELNS1_11target_archE1100ELNS1_3gpuE3ELNS1_3repE0EEENS1_30default_config_static_selectorELNS0_4arch9wavefront6targetE0EEEvT1_.has_indirect_call, 0
	.section	.AMDGPU.csdata,"",@progbits
; Kernel info:
; codeLenInByte = 0
; TotalNumSgprs: 0
; NumVgprs: 0
; ScratchSize: 0
; MemoryBound: 0
; FloatMode: 240
; IeeeMode: 1
; LDSByteSize: 0 bytes/workgroup (compile time only)
; SGPRBlocks: 0
; VGPRBlocks: 0
; NumSGPRsForWavesPerEU: 1
; NumVGPRsForWavesPerEU: 1
; NamedBarCnt: 0
; Occupancy: 16
; WaveLimiterHint : 0
; COMPUTE_PGM_RSRC2:SCRATCH_EN: 0
; COMPUTE_PGM_RSRC2:USER_SGPR: 2
; COMPUTE_PGM_RSRC2:TRAP_HANDLER: 0
; COMPUTE_PGM_RSRC2:TGID_X_EN: 1
; COMPUTE_PGM_RSRC2:TGID_Y_EN: 0
; COMPUTE_PGM_RSRC2:TGID_Z_EN: 0
; COMPUTE_PGM_RSRC2:TIDIG_COMP_CNT: 0
	.section	.text._ZN7rocprim17ROCPRIM_400000_NS6detail17trampoline_kernelINS0_14default_configENS1_20scan_config_selectorIjEEZZNS1_9scan_implILNS1_25lookback_scan_determinismE0ELb1ELb1ES3_PjS8_jN6hipcub16HIPCUB_304000_NS3SumEjEEDaPvRmT3_T4_T5_mT6_P12ihipStream_tbENKUlT_T0_E_clISt17integral_constantIbLb1EESO_IbLb0EEEEDaSK_SL_EUlSK_E_NS1_11comp_targetILNS1_3genE8ELNS1_11target_archE1030ELNS1_3gpuE2ELNS1_3repE0EEENS1_30default_config_static_selectorELNS0_4arch9wavefront6targetE0EEEvT1_,"axG",@progbits,_ZN7rocprim17ROCPRIM_400000_NS6detail17trampoline_kernelINS0_14default_configENS1_20scan_config_selectorIjEEZZNS1_9scan_implILNS1_25lookback_scan_determinismE0ELb1ELb1ES3_PjS8_jN6hipcub16HIPCUB_304000_NS3SumEjEEDaPvRmT3_T4_T5_mT6_P12ihipStream_tbENKUlT_T0_E_clISt17integral_constantIbLb1EESO_IbLb0EEEEDaSK_SL_EUlSK_E_NS1_11comp_targetILNS1_3genE8ELNS1_11target_archE1030ELNS1_3gpuE2ELNS1_3repE0EEENS1_30default_config_static_selectorELNS0_4arch9wavefront6targetE0EEEvT1_,comdat
	.protected	_ZN7rocprim17ROCPRIM_400000_NS6detail17trampoline_kernelINS0_14default_configENS1_20scan_config_selectorIjEEZZNS1_9scan_implILNS1_25lookback_scan_determinismE0ELb1ELb1ES3_PjS8_jN6hipcub16HIPCUB_304000_NS3SumEjEEDaPvRmT3_T4_T5_mT6_P12ihipStream_tbENKUlT_T0_E_clISt17integral_constantIbLb1EESO_IbLb0EEEEDaSK_SL_EUlSK_E_NS1_11comp_targetILNS1_3genE8ELNS1_11target_archE1030ELNS1_3gpuE2ELNS1_3repE0EEENS1_30default_config_static_selectorELNS0_4arch9wavefront6targetE0EEEvT1_ ; -- Begin function _ZN7rocprim17ROCPRIM_400000_NS6detail17trampoline_kernelINS0_14default_configENS1_20scan_config_selectorIjEEZZNS1_9scan_implILNS1_25lookback_scan_determinismE0ELb1ELb1ES3_PjS8_jN6hipcub16HIPCUB_304000_NS3SumEjEEDaPvRmT3_T4_T5_mT6_P12ihipStream_tbENKUlT_T0_E_clISt17integral_constantIbLb1EESO_IbLb0EEEEDaSK_SL_EUlSK_E_NS1_11comp_targetILNS1_3genE8ELNS1_11target_archE1030ELNS1_3gpuE2ELNS1_3repE0EEENS1_30default_config_static_selectorELNS0_4arch9wavefront6targetE0EEEvT1_
	.globl	_ZN7rocprim17ROCPRIM_400000_NS6detail17trampoline_kernelINS0_14default_configENS1_20scan_config_selectorIjEEZZNS1_9scan_implILNS1_25lookback_scan_determinismE0ELb1ELb1ES3_PjS8_jN6hipcub16HIPCUB_304000_NS3SumEjEEDaPvRmT3_T4_T5_mT6_P12ihipStream_tbENKUlT_T0_E_clISt17integral_constantIbLb1EESO_IbLb0EEEEDaSK_SL_EUlSK_E_NS1_11comp_targetILNS1_3genE8ELNS1_11target_archE1030ELNS1_3gpuE2ELNS1_3repE0EEENS1_30default_config_static_selectorELNS0_4arch9wavefront6targetE0EEEvT1_
	.p2align	8
	.type	_ZN7rocprim17ROCPRIM_400000_NS6detail17trampoline_kernelINS0_14default_configENS1_20scan_config_selectorIjEEZZNS1_9scan_implILNS1_25lookback_scan_determinismE0ELb1ELb1ES3_PjS8_jN6hipcub16HIPCUB_304000_NS3SumEjEEDaPvRmT3_T4_T5_mT6_P12ihipStream_tbENKUlT_T0_E_clISt17integral_constantIbLb1EESO_IbLb0EEEEDaSK_SL_EUlSK_E_NS1_11comp_targetILNS1_3genE8ELNS1_11target_archE1030ELNS1_3gpuE2ELNS1_3repE0EEENS1_30default_config_static_selectorELNS0_4arch9wavefront6targetE0EEEvT1_,@function
_ZN7rocprim17ROCPRIM_400000_NS6detail17trampoline_kernelINS0_14default_configENS1_20scan_config_selectorIjEEZZNS1_9scan_implILNS1_25lookback_scan_determinismE0ELb1ELb1ES3_PjS8_jN6hipcub16HIPCUB_304000_NS3SumEjEEDaPvRmT3_T4_T5_mT6_P12ihipStream_tbENKUlT_T0_E_clISt17integral_constantIbLb1EESO_IbLb0EEEEDaSK_SL_EUlSK_E_NS1_11comp_targetILNS1_3genE8ELNS1_11target_archE1030ELNS1_3gpuE2ELNS1_3repE0EEENS1_30default_config_static_selectorELNS0_4arch9wavefront6targetE0EEEvT1_: ; @_ZN7rocprim17ROCPRIM_400000_NS6detail17trampoline_kernelINS0_14default_configENS1_20scan_config_selectorIjEEZZNS1_9scan_implILNS1_25lookback_scan_determinismE0ELb1ELb1ES3_PjS8_jN6hipcub16HIPCUB_304000_NS3SumEjEEDaPvRmT3_T4_T5_mT6_P12ihipStream_tbENKUlT_T0_E_clISt17integral_constantIbLb1EESO_IbLb0EEEEDaSK_SL_EUlSK_E_NS1_11comp_targetILNS1_3genE8ELNS1_11target_archE1030ELNS1_3gpuE2ELNS1_3repE0EEENS1_30default_config_static_selectorELNS0_4arch9wavefront6targetE0EEEvT1_
; %bb.0:
	.section	.rodata,"a",@progbits
	.p2align	6, 0x0
	.amdhsa_kernel _ZN7rocprim17ROCPRIM_400000_NS6detail17trampoline_kernelINS0_14default_configENS1_20scan_config_selectorIjEEZZNS1_9scan_implILNS1_25lookback_scan_determinismE0ELb1ELb1ES3_PjS8_jN6hipcub16HIPCUB_304000_NS3SumEjEEDaPvRmT3_T4_T5_mT6_P12ihipStream_tbENKUlT_T0_E_clISt17integral_constantIbLb1EESO_IbLb0EEEEDaSK_SL_EUlSK_E_NS1_11comp_targetILNS1_3genE8ELNS1_11target_archE1030ELNS1_3gpuE2ELNS1_3repE0EEENS1_30default_config_static_selectorELNS0_4arch9wavefront6targetE0EEEvT1_
		.amdhsa_group_segment_fixed_size 0
		.amdhsa_private_segment_fixed_size 0
		.amdhsa_kernarg_size 96
		.amdhsa_user_sgpr_count 2
		.amdhsa_user_sgpr_dispatch_ptr 0
		.amdhsa_user_sgpr_queue_ptr 0
		.amdhsa_user_sgpr_kernarg_segment_ptr 1
		.amdhsa_user_sgpr_dispatch_id 0
		.amdhsa_user_sgpr_kernarg_preload_length 0
		.amdhsa_user_sgpr_kernarg_preload_offset 0
		.amdhsa_user_sgpr_private_segment_size 0
		.amdhsa_wavefront_size32 1
		.amdhsa_uses_dynamic_stack 0
		.amdhsa_enable_private_segment 0
		.amdhsa_system_sgpr_workgroup_id_x 1
		.amdhsa_system_sgpr_workgroup_id_y 0
		.amdhsa_system_sgpr_workgroup_id_z 0
		.amdhsa_system_sgpr_workgroup_info 0
		.amdhsa_system_vgpr_workitem_id 0
		.amdhsa_next_free_vgpr 1
		.amdhsa_next_free_sgpr 1
		.amdhsa_named_barrier_count 0
		.amdhsa_reserve_vcc 0
		.amdhsa_float_round_mode_32 0
		.amdhsa_float_round_mode_16_64 0
		.amdhsa_float_denorm_mode_32 3
		.amdhsa_float_denorm_mode_16_64 3
		.amdhsa_fp16_overflow 0
		.amdhsa_memory_ordered 1
		.amdhsa_forward_progress 1
		.amdhsa_inst_pref_size 0
		.amdhsa_round_robin_scheduling 0
		.amdhsa_exception_fp_ieee_invalid_op 0
		.amdhsa_exception_fp_denorm_src 0
		.amdhsa_exception_fp_ieee_div_zero 0
		.amdhsa_exception_fp_ieee_overflow 0
		.amdhsa_exception_fp_ieee_underflow 0
		.amdhsa_exception_fp_ieee_inexact 0
		.amdhsa_exception_int_div_zero 0
	.end_amdhsa_kernel
	.section	.text._ZN7rocprim17ROCPRIM_400000_NS6detail17trampoline_kernelINS0_14default_configENS1_20scan_config_selectorIjEEZZNS1_9scan_implILNS1_25lookback_scan_determinismE0ELb1ELb1ES3_PjS8_jN6hipcub16HIPCUB_304000_NS3SumEjEEDaPvRmT3_T4_T5_mT6_P12ihipStream_tbENKUlT_T0_E_clISt17integral_constantIbLb1EESO_IbLb0EEEEDaSK_SL_EUlSK_E_NS1_11comp_targetILNS1_3genE8ELNS1_11target_archE1030ELNS1_3gpuE2ELNS1_3repE0EEENS1_30default_config_static_selectorELNS0_4arch9wavefront6targetE0EEEvT1_,"axG",@progbits,_ZN7rocprim17ROCPRIM_400000_NS6detail17trampoline_kernelINS0_14default_configENS1_20scan_config_selectorIjEEZZNS1_9scan_implILNS1_25lookback_scan_determinismE0ELb1ELb1ES3_PjS8_jN6hipcub16HIPCUB_304000_NS3SumEjEEDaPvRmT3_T4_T5_mT6_P12ihipStream_tbENKUlT_T0_E_clISt17integral_constantIbLb1EESO_IbLb0EEEEDaSK_SL_EUlSK_E_NS1_11comp_targetILNS1_3genE8ELNS1_11target_archE1030ELNS1_3gpuE2ELNS1_3repE0EEENS1_30default_config_static_selectorELNS0_4arch9wavefront6targetE0EEEvT1_,comdat
.Lfunc_end56:
	.size	_ZN7rocprim17ROCPRIM_400000_NS6detail17trampoline_kernelINS0_14default_configENS1_20scan_config_selectorIjEEZZNS1_9scan_implILNS1_25lookback_scan_determinismE0ELb1ELb1ES3_PjS8_jN6hipcub16HIPCUB_304000_NS3SumEjEEDaPvRmT3_T4_T5_mT6_P12ihipStream_tbENKUlT_T0_E_clISt17integral_constantIbLb1EESO_IbLb0EEEEDaSK_SL_EUlSK_E_NS1_11comp_targetILNS1_3genE8ELNS1_11target_archE1030ELNS1_3gpuE2ELNS1_3repE0EEENS1_30default_config_static_selectorELNS0_4arch9wavefront6targetE0EEEvT1_, .Lfunc_end56-_ZN7rocprim17ROCPRIM_400000_NS6detail17trampoline_kernelINS0_14default_configENS1_20scan_config_selectorIjEEZZNS1_9scan_implILNS1_25lookback_scan_determinismE0ELb1ELb1ES3_PjS8_jN6hipcub16HIPCUB_304000_NS3SumEjEEDaPvRmT3_T4_T5_mT6_P12ihipStream_tbENKUlT_T0_E_clISt17integral_constantIbLb1EESO_IbLb0EEEEDaSK_SL_EUlSK_E_NS1_11comp_targetILNS1_3genE8ELNS1_11target_archE1030ELNS1_3gpuE2ELNS1_3repE0EEENS1_30default_config_static_selectorELNS0_4arch9wavefront6targetE0EEEvT1_
                                        ; -- End function
	.set _ZN7rocprim17ROCPRIM_400000_NS6detail17trampoline_kernelINS0_14default_configENS1_20scan_config_selectorIjEEZZNS1_9scan_implILNS1_25lookback_scan_determinismE0ELb1ELb1ES3_PjS8_jN6hipcub16HIPCUB_304000_NS3SumEjEEDaPvRmT3_T4_T5_mT6_P12ihipStream_tbENKUlT_T0_E_clISt17integral_constantIbLb1EESO_IbLb0EEEEDaSK_SL_EUlSK_E_NS1_11comp_targetILNS1_3genE8ELNS1_11target_archE1030ELNS1_3gpuE2ELNS1_3repE0EEENS1_30default_config_static_selectorELNS0_4arch9wavefront6targetE0EEEvT1_.num_vgpr, 0
	.set _ZN7rocprim17ROCPRIM_400000_NS6detail17trampoline_kernelINS0_14default_configENS1_20scan_config_selectorIjEEZZNS1_9scan_implILNS1_25lookback_scan_determinismE0ELb1ELb1ES3_PjS8_jN6hipcub16HIPCUB_304000_NS3SumEjEEDaPvRmT3_T4_T5_mT6_P12ihipStream_tbENKUlT_T0_E_clISt17integral_constantIbLb1EESO_IbLb0EEEEDaSK_SL_EUlSK_E_NS1_11comp_targetILNS1_3genE8ELNS1_11target_archE1030ELNS1_3gpuE2ELNS1_3repE0EEENS1_30default_config_static_selectorELNS0_4arch9wavefront6targetE0EEEvT1_.num_agpr, 0
	.set _ZN7rocprim17ROCPRIM_400000_NS6detail17trampoline_kernelINS0_14default_configENS1_20scan_config_selectorIjEEZZNS1_9scan_implILNS1_25lookback_scan_determinismE0ELb1ELb1ES3_PjS8_jN6hipcub16HIPCUB_304000_NS3SumEjEEDaPvRmT3_T4_T5_mT6_P12ihipStream_tbENKUlT_T0_E_clISt17integral_constantIbLb1EESO_IbLb0EEEEDaSK_SL_EUlSK_E_NS1_11comp_targetILNS1_3genE8ELNS1_11target_archE1030ELNS1_3gpuE2ELNS1_3repE0EEENS1_30default_config_static_selectorELNS0_4arch9wavefront6targetE0EEEvT1_.numbered_sgpr, 0
	.set _ZN7rocprim17ROCPRIM_400000_NS6detail17trampoline_kernelINS0_14default_configENS1_20scan_config_selectorIjEEZZNS1_9scan_implILNS1_25lookback_scan_determinismE0ELb1ELb1ES3_PjS8_jN6hipcub16HIPCUB_304000_NS3SumEjEEDaPvRmT3_T4_T5_mT6_P12ihipStream_tbENKUlT_T0_E_clISt17integral_constantIbLb1EESO_IbLb0EEEEDaSK_SL_EUlSK_E_NS1_11comp_targetILNS1_3genE8ELNS1_11target_archE1030ELNS1_3gpuE2ELNS1_3repE0EEENS1_30default_config_static_selectorELNS0_4arch9wavefront6targetE0EEEvT1_.num_named_barrier, 0
	.set _ZN7rocprim17ROCPRIM_400000_NS6detail17trampoline_kernelINS0_14default_configENS1_20scan_config_selectorIjEEZZNS1_9scan_implILNS1_25lookback_scan_determinismE0ELb1ELb1ES3_PjS8_jN6hipcub16HIPCUB_304000_NS3SumEjEEDaPvRmT3_T4_T5_mT6_P12ihipStream_tbENKUlT_T0_E_clISt17integral_constantIbLb1EESO_IbLb0EEEEDaSK_SL_EUlSK_E_NS1_11comp_targetILNS1_3genE8ELNS1_11target_archE1030ELNS1_3gpuE2ELNS1_3repE0EEENS1_30default_config_static_selectorELNS0_4arch9wavefront6targetE0EEEvT1_.private_seg_size, 0
	.set _ZN7rocprim17ROCPRIM_400000_NS6detail17trampoline_kernelINS0_14default_configENS1_20scan_config_selectorIjEEZZNS1_9scan_implILNS1_25lookback_scan_determinismE0ELb1ELb1ES3_PjS8_jN6hipcub16HIPCUB_304000_NS3SumEjEEDaPvRmT3_T4_T5_mT6_P12ihipStream_tbENKUlT_T0_E_clISt17integral_constantIbLb1EESO_IbLb0EEEEDaSK_SL_EUlSK_E_NS1_11comp_targetILNS1_3genE8ELNS1_11target_archE1030ELNS1_3gpuE2ELNS1_3repE0EEENS1_30default_config_static_selectorELNS0_4arch9wavefront6targetE0EEEvT1_.uses_vcc, 0
	.set _ZN7rocprim17ROCPRIM_400000_NS6detail17trampoline_kernelINS0_14default_configENS1_20scan_config_selectorIjEEZZNS1_9scan_implILNS1_25lookback_scan_determinismE0ELb1ELb1ES3_PjS8_jN6hipcub16HIPCUB_304000_NS3SumEjEEDaPvRmT3_T4_T5_mT6_P12ihipStream_tbENKUlT_T0_E_clISt17integral_constantIbLb1EESO_IbLb0EEEEDaSK_SL_EUlSK_E_NS1_11comp_targetILNS1_3genE8ELNS1_11target_archE1030ELNS1_3gpuE2ELNS1_3repE0EEENS1_30default_config_static_selectorELNS0_4arch9wavefront6targetE0EEEvT1_.uses_flat_scratch, 0
	.set _ZN7rocprim17ROCPRIM_400000_NS6detail17trampoline_kernelINS0_14default_configENS1_20scan_config_selectorIjEEZZNS1_9scan_implILNS1_25lookback_scan_determinismE0ELb1ELb1ES3_PjS8_jN6hipcub16HIPCUB_304000_NS3SumEjEEDaPvRmT3_T4_T5_mT6_P12ihipStream_tbENKUlT_T0_E_clISt17integral_constantIbLb1EESO_IbLb0EEEEDaSK_SL_EUlSK_E_NS1_11comp_targetILNS1_3genE8ELNS1_11target_archE1030ELNS1_3gpuE2ELNS1_3repE0EEENS1_30default_config_static_selectorELNS0_4arch9wavefront6targetE0EEEvT1_.has_dyn_sized_stack, 0
	.set _ZN7rocprim17ROCPRIM_400000_NS6detail17trampoline_kernelINS0_14default_configENS1_20scan_config_selectorIjEEZZNS1_9scan_implILNS1_25lookback_scan_determinismE0ELb1ELb1ES3_PjS8_jN6hipcub16HIPCUB_304000_NS3SumEjEEDaPvRmT3_T4_T5_mT6_P12ihipStream_tbENKUlT_T0_E_clISt17integral_constantIbLb1EESO_IbLb0EEEEDaSK_SL_EUlSK_E_NS1_11comp_targetILNS1_3genE8ELNS1_11target_archE1030ELNS1_3gpuE2ELNS1_3repE0EEENS1_30default_config_static_selectorELNS0_4arch9wavefront6targetE0EEEvT1_.has_recursion, 0
	.set _ZN7rocprim17ROCPRIM_400000_NS6detail17trampoline_kernelINS0_14default_configENS1_20scan_config_selectorIjEEZZNS1_9scan_implILNS1_25lookback_scan_determinismE0ELb1ELb1ES3_PjS8_jN6hipcub16HIPCUB_304000_NS3SumEjEEDaPvRmT3_T4_T5_mT6_P12ihipStream_tbENKUlT_T0_E_clISt17integral_constantIbLb1EESO_IbLb0EEEEDaSK_SL_EUlSK_E_NS1_11comp_targetILNS1_3genE8ELNS1_11target_archE1030ELNS1_3gpuE2ELNS1_3repE0EEENS1_30default_config_static_selectorELNS0_4arch9wavefront6targetE0EEEvT1_.has_indirect_call, 0
	.section	.AMDGPU.csdata,"",@progbits
; Kernel info:
; codeLenInByte = 0
; TotalNumSgprs: 0
; NumVgprs: 0
; ScratchSize: 0
; MemoryBound: 0
; FloatMode: 240
; IeeeMode: 1
; LDSByteSize: 0 bytes/workgroup (compile time only)
; SGPRBlocks: 0
; VGPRBlocks: 0
; NumSGPRsForWavesPerEU: 1
; NumVGPRsForWavesPerEU: 1
; NamedBarCnt: 0
; Occupancy: 16
; WaveLimiterHint : 0
; COMPUTE_PGM_RSRC2:SCRATCH_EN: 0
; COMPUTE_PGM_RSRC2:USER_SGPR: 2
; COMPUTE_PGM_RSRC2:TRAP_HANDLER: 0
; COMPUTE_PGM_RSRC2:TGID_X_EN: 1
; COMPUTE_PGM_RSRC2:TGID_Y_EN: 0
; COMPUTE_PGM_RSRC2:TGID_Z_EN: 0
; COMPUTE_PGM_RSRC2:TIDIG_COMP_CNT: 0
	.section	.text._ZN7rocprim17ROCPRIM_400000_NS6detail17trampoline_kernelINS0_14default_configENS1_20scan_config_selectorIjEEZZNS1_9scan_implILNS1_25lookback_scan_determinismE0ELb1ELb1ES3_PjS8_jN6hipcub16HIPCUB_304000_NS3SumEjEEDaPvRmT3_T4_T5_mT6_P12ihipStream_tbENKUlT_T0_E_clISt17integral_constantIbLb1EESO_IbLb0EEEEDaSK_SL_EUlSK_E0_NS1_11comp_targetILNS1_3genE0ELNS1_11target_archE4294967295ELNS1_3gpuE0ELNS1_3repE0EEENS1_30default_config_static_selectorELNS0_4arch9wavefront6targetE0EEEvT1_,"axG",@progbits,_ZN7rocprim17ROCPRIM_400000_NS6detail17trampoline_kernelINS0_14default_configENS1_20scan_config_selectorIjEEZZNS1_9scan_implILNS1_25lookback_scan_determinismE0ELb1ELb1ES3_PjS8_jN6hipcub16HIPCUB_304000_NS3SumEjEEDaPvRmT3_T4_T5_mT6_P12ihipStream_tbENKUlT_T0_E_clISt17integral_constantIbLb1EESO_IbLb0EEEEDaSK_SL_EUlSK_E0_NS1_11comp_targetILNS1_3genE0ELNS1_11target_archE4294967295ELNS1_3gpuE0ELNS1_3repE0EEENS1_30default_config_static_selectorELNS0_4arch9wavefront6targetE0EEEvT1_,comdat
	.protected	_ZN7rocprim17ROCPRIM_400000_NS6detail17trampoline_kernelINS0_14default_configENS1_20scan_config_selectorIjEEZZNS1_9scan_implILNS1_25lookback_scan_determinismE0ELb1ELb1ES3_PjS8_jN6hipcub16HIPCUB_304000_NS3SumEjEEDaPvRmT3_T4_T5_mT6_P12ihipStream_tbENKUlT_T0_E_clISt17integral_constantIbLb1EESO_IbLb0EEEEDaSK_SL_EUlSK_E0_NS1_11comp_targetILNS1_3genE0ELNS1_11target_archE4294967295ELNS1_3gpuE0ELNS1_3repE0EEENS1_30default_config_static_selectorELNS0_4arch9wavefront6targetE0EEEvT1_ ; -- Begin function _ZN7rocprim17ROCPRIM_400000_NS6detail17trampoline_kernelINS0_14default_configENS1_20scan_config_selectorIjEEZZNS1_9scan_implILNS1_25lookback_scan_determinismE0ELb1ELb1ES3_PjS8_jN6hipcub16HIPCUB_304000_NS3SumEjEEDaPvRmT3_T4_T5_mT6_P12ihipStream_tbENKUlT_T0_E_clISt17integral_constantIbLb1EESO_IbLb0EEEEDaSK_SL_EUlSK_E0_NS1_11comp_targetILNS1_3genE0ELNS1_11target_archE4294967295ELNS1_3gpuE0ELNS1_3repE0EEENS1_30default_config_static_selectorELNS0_4arch9wavefront6targetE0EEEvT1_
	.globl	_ZN7rocprim17ROCPRIM_400000_NS6detail17trampoline_kernelINS0_14default_configENS1_20scan_config_selectorIjEEZZNS1_9scan_implILNS1_25lookback_scan_determinismE0ELb1ELb1ES3_PjS8_jN6hipcub16HIPCUB_304000_NS3SumEjEEDaPvRmT3_T4_T5_mT6_P12ihipStream_tbENKUlT_T0_E_clISt17integral_constantIbLb1EESO_IbLb0EEEEDaSK_SL_EUlSK_E0_NS1_11comp_targetILNS1_3genE0ELNS1_11target_archE4294967295ELNS1_3gpuE0ELNS1_3repE0EEENS1_30default_config_static_selectorELNS0_4arch9wavefront6targetE0EEEvT1_
	.p2align	8
	.type	_ZN7rocprim17ROCPRIM_400000_NS6detail17trampoline_kernelINS0_14default_configENS1_20scan_config_selectorIjEEZZNS1_9scan_implILNS1_25lookback_scan_determinismE0ELb1ELb1ES3_PjS8_jN6hipcub16HIPCUB_304000_NS3SumEjEEDaPvRmT3_T4_T5_mT6_P12ihipStream_tbENKUlT_T0_E_clISt17integral_constantIbLb1EESO_IbLb0EEEEDaSK_SL_EUlSK_E0_NS1_11comp_targetILNS1_3genE0ELNS1_11target_archE4294967295ELNS1_3gpuE0ELNS1_3repE0EEENS1_30default_config_static_selectorELNS0_4arch9wavefront6targetE0EEEvT1_,@function
_ZN7rocprim17ROCPRIM_400000_NS6detail17trampoline_kernelINS0_14default_configENS1_20scan_config_selectorIjEEZZNS1_9scan_implILNS1_25lookback_scan_determinismE0ELb1ELb1ES3_PjS8_jN6hipcub16HIPCUB_304000_NS3SumEjEEDaPvRmT3_T4_T5_mT6_P12ihipStream_tbENKUlT_T0_E_clISt17integral_constantIbLb1EESO_IbLb0EEEEDaSK_SL_EUlSK_E0_NS1_11comp_targetILNS1_3genE0ELNS1_11target_archE4294967295ELNS1_3gpuE0ELNS1_3repE0EEENS1_30default_config_static_selectorELNS0_4arch9wavefront6targetE0EEEvT1_: ; @_ZN7rocprim17ROCPRIM_400000_NS6detail17trampoline_kernelINS0_14default_configENS1_20scan_config_selectorIjEEZZNS1_9scan_implILNS1_25lookback_scan_determinismE0ELb1ELb1ES3_PjS8_jN6hipcub16HIPCUB_304000_NS3SumEjEEDaPvRmT3_T4_T5_mT6_P12ihipStream_tbENKUlT_T0_E_clISt17integral_constantIbLb1EESO_IbLb0EEEEDaSK_SL_EUlSK_E0_NS1_11comp_targetILNS1_3genE0ELNS1_11target_archE4294967295ELNS1_3gpuE0ELNS1_3repE0EEENS1_30default_config_static_selectorELNS0_4arch9wavefront6targetE0EEEvT1_
; %bb.0:
	s_load_b128 s[16:19], s[0:1], 0x0
	s_wait_kmcnt 0x0
	v_cmp_gt_u32_e32 vcc_lo, s18, v0
	s_load_b32 s19, s[16:17], 0x0
	s_wait_kmcnt 0x0
	v_mov_b32_e32 v1, s19
	s_and_saveexec_b32 s2, vcc_lo
	s_cbranch_execz .LBB57_2
; %bb.1:
	global_load_b32 v1, v0, s[16:17] scale_offset
.LBB57_2:
	s_wait_xcnt 0x0
	s_or_b32 exec_lo, exec_lo, s2
	v_or_b32_e32 v2, 0x100, v0
	s_delay_alu instid0(VALU_DEP_1)
	v_cmp_gt_u32_e64 s2, s18, v2
	v_mov_b32_e32 v2, s19
	s_and_saveexec_b32 s3, s2
	s_cbranch_execz .LBB57_4
; %bb.3:
	global_load_b32 v2, v0, s[16:17] offset:1024 scale_offset
.LBB57_4:
	s_wait_xcnt 0x0
	s_or_b32 exec_lo, exec_lo, s3
	v_or_b32_e32 v3, 0x200, v0
	s_delay_alu instid0(VALU_DEP_1)
	v_cmp_gt_u32_e64 s3, s18, v3
	v_mov_b32_e32 v3, s19
	s_and_saveexec_b32 s4, s3
	s_cbranch_execz .LBB57_6
; %bb.5:
	global_load_b32 v3, v0, s[16:17] offset:2048 scale_offset
.LBB57_6:
	;; [unrolled: 11-line block ×12, first 2 shown]
	s_wait_xcnt 0x0
	s_or_b32 exec_lo, exec_lo, s14
	v_or_b32_e32 v14, 0xd00, v0
	s_delay_alu instid0(VALU_DEP_1) | instskip(SKIP_2) | instid1(SALU_CYCLE_1)
	v_cmp_gt_u32_e64 s14, s18, v14
	v_cmp_le_u32_e64 s15, s18, v14
	s_and_saveexec_b32 s18, s15
	s_xor_b32 s15, exec_lo, s18
	s_delay_alu instid0(SALU_CYCLE_1)
	s_or_saveexec_b32 s15, s15
	v_mov_b32_e32 v14, s19
	s_xor_b32 exec_lo, exec_lo, s15
	s_cbranch_execz .LBB57_28
; %bb.27:
	global_load_b32 v14, v0, s[16:17] offset:13312 scale_offset
.LBB57_28:
	s_wait_xcnt 0x0
	s_or_b32 exec_lo, exec_lo, s15
	v_lshlrev_b32_e32 v16, 2, v0
	s_load_b32 s18, s[0:1], 0x10
	v_or_b32_e32 v19, 31, v0
	s_mov_b32 s16, exec_lo
	s_wait_loadcnt 0x0
	ds_store_2addr_stride64_b32 v16, v1, v2 offset1:4
	ds_store_2addr_stride64_b32 v16, v3, v4 offset0:8 offset1:12
	ds_store_2addr_stride64_b32 v16, v5, v6 offset0:16 offset1:20
	;; [unrolled: 1-line block ×6, first 2 shown]
	v_mad_u32_u24 v1, v0, 52, v16
	s_wait_dscnt 0x0
	s_barrier_signal -1
	s_barrier_wait -1
	ds_load_2addr_b64 v[10:13], v1 offset1:1
	ds_load_2addr_b64 v[6:9], v1 offset0:2 offset1:3
	ds_load_2addr_b64 v[2:5], v1 offset0:4 offset1:5
	s_wait_dscnt 0x2
	v_add_nc_u32_e32 v14, v11, v10
	s_delay_alu instid0(VALU_DEP_1)
	v_add3_u32 v17, v14, v12, v13
	ds_load_b64 v[14:15], v1 offset:48
	s_wait_dscnt 0x0
	s_barrier_signal -1
	s_barrier_wait -1
	v_add3_u32 v1, v17, v6, v7
	s_delay_alu instid0(VALU_DEP_1) | instskip(NEXT) | instid1(VALU_DEP_1)
	v_add3_u32 v1, v1, v8, v9
	v_add3_u32 v1, v1, v2, v3
	s_delay_alu instid0(VALU_DEP_1) | instskip(SKIP_1) | instid1(VALU_DEP_2)
	v_add3_u32 v17, v1, v4, v5
	v_mbcnt_lo_u32_b32 v1, -1, 0
	v_add3_u32 v15, v17, v14, v15
	s_delay_alu instid0(VALU_DEP_1) | instskip(NEXT) | instid1(VALU_DEP_3)
	v_mov_b32_dpp v18, v15 row_shr:1 row_mask:0xf bank_mask:0xf
	v_and_b32_e32 v17, 15, v1
	s_delay_alu instid0(VALU_DEP_1) | instskip(NEXT) | instid1(VALU_DEP_1)
	v_cmp_ne_u32_e64 s15, 0, v17
	v_cndmask_b32_e64 v18, 0, v18, s15
	v_cmp_lt_u32_e64 s15, 1, v17
	s_delay_alu instid0(VALU_DEP_2) | instskip(NEXT) | instid1(VALU_DEP_1)
	v_add_nc_u32_e32 v15, v18, v15
	v_mov_b32_dpp v18, v15 row_shr:2 row_mask:0xf bank_mask:0xf
	s_delay_alu instid0(VALU_DEP_1) | instskip(SKIP_1) | instid1(VALU_DEP_2)
	v_cndmask_b32_e64 v18, 0, v18, s15
	v_cmp_lt_u32_e64 s15, 3, v17
	v_add_nc_u32_e32 v15, v15, v18
	s_delay_alu instid0(VALU_DEP_1) | instskip(NEXT) | instid1(VALU_DEP_1)
	v_mov_b32_dpp v18, v15 row_shr:4 row_mask:0xf bank_mask:0xf
	v_cndmask_b32_e64 v18, 0, v18, s15
	v_cmp_lt_u32_e64 s15, 7, v17
	s_delay_alu instid0(VALU_DEP_2) | instskip(NEXT) | instid1(VALU_DEP_1)
	v_add_nc_u32_e32 v15, v15, v18
	v_mov_b32_dpp v18, v15 row_shr:8 row_mask:0xf bank_mask:0xf
	s_delay_alu instid0(VALU_DEP_1) | instskip(SKIP_1) | instid1(VALU_DEP_2)
	v_cndmask_b32_e64 v17, 0, v18, s15
	v_bfe_i32 v18, v1, 4, 1
	v_add_nc_u32_e32 v15, v15, v17
	ds_swizzle_b32 v17, v15 offset:swizzle(BROADCAST,32,15)
	s_wait_dscnt 0x0
	v_dual_lshrrev_b32 v17, 5, v0 :: v_dual_bitop2_b32 v18, v18, v17 bitop3:0x40
	s_delay_alu instid0(VALU_DEP_1)
	v_add_nc_u32_e32 v15, v15, v18
	v_cmpx_eq_u32_e64 v0, v19
; %bb.29:
	s_delay_alu instid0(VALU_DEP_3)
	v_lshlrev_b32_e32 v18, 2, v17
	ds_store_b32 v18, v15
; %bb.30:
	s_or_b32 exec_lo, exec_lo, s16
	s_delay_alu instid0(SALU_CYCLE_1)
	s_mov_b32 s16, exec_lo
	s_wait_dscnt 0x0
	s_barrier_signal -1
	s_barrier_wait -1
	v_cmpx_gt_u32_e32 8, v0
	s_cbranch_execz .LBB57_32
; %bb.31:
	ds_load_b32 v18, v16
	s_wait_dscnt 0x0
	v_mov_b32_dpp v20, v18 row_shr:1 row_mask:0xf bank_mask:0xf
	v_and_b32_e32 v19, 7, v1
	s_delay_alu instid0(VALU_DEP_1) | instskip(NEXT) | instid1(VALU_DEP_1)
	v_cmp_ne_u32_e64 s15, 0, v19
	v_cndmask_b32_e64 v20, 0, v20, s15
	v_cmp_lt_u32_e64 s15, 1, v19
	s_delay_alu instid0(VALU_DEP_2) | instskip(NEXT) | instid1(VALU_DEP_1)
	v_add_nc_u32_e32 v18, v20, v18
	v_mov_b32_dpp v20, v18 row_shr:2 row_mask:0xf bank_mask:0xf
	s_delay_alu instid0(VALU_DEP_1) | instskip(SKIP_1) | instid1(VALU_DEP_2)
	v_cndmask_b32_e64 v20, 0, v20, s15
	v_cmp_lt_u32_e64 s15, 3, v19
	v_add_nc_u32_e32 v18, v18, v20
	s_delay_alu instid0(VALU_DEP_1) | instskip(NEXT) | instid1(VALU_DEP_1)
	v_mov_b32_dpp v20, v18 row_shr:4 row_mask:0xf bank_mask:0xf
	v_cndmask_b32_e64 v19, 0, v20, s15
	s_delay_alu instid0(VALU_DEP_1)
	v_add_nc_u32_e32 v18, v18, v19
	ds_store_b32 v16, v18
.LBB57_32:
	s_or_b32 exec_lo, exec_lo, s16
	s_load_b64 s[16:17], s[0:1], 0x18
	v_mul_u32_u24_e32 v18, 52, v0
	s_wait_kmcnt 0x0
	v_mov_b32_e32 v19, s18
	s_mov_b32 s1, exec_lo
	s_wait_dscnt 0x0
	s_barrier_signal -1
	s_barrier_wait -1
	v_cmpx_lt_u32_e32 31, v0
	s_cbranch_execz .LBB57_34
; %bb.33:
	v_lshl_add_u32 v17, v17, 2, -4
	ds_load_b32 v17, v17
	s_wait_dscnt 0x0
	v_add_nc_u32_e32 v19, s18, v17
.LBB57_34:
	s_or_b32 exec_lo, exec_lo, s1
	v_sub_co_u32 v17, s0, v1, 1
	s_barrier_signal -1
	s_barrier_wait -1
	s_delay_alu instid0(VALU_DEP_1) | instskip(NEXT) | instid1(VALU_DEP_1)
	v_cmp_gt_i32_e64 s1, 0, v17
	v_dual_add_nc_u32 v15, v19, v15 :: v_dual_cndmask_b32 v1, v17, v1, s1
	s_delay_alu instid0(VALU_DEP_1)
	v_lshlrev_b32_e32 v1, 2, v1
	ds_bpermute_b32 v1, v1, v15
	s_wait_dscnt 0x0
	v_cndmask_b32_e64 v1, v1, v19, s0
	v_cmp_eq_u32_e64 s0, 0, v0
	v_lshlrev_b32_e32 v0, 2, v0
	s_delay_alu instid0(VALU_DEP_2) | instskip(SKIP_1) | instid1(VALU_DEP_2)
	v_cndmask_b32_e64 v20, v1, s18, s0
	v_add_nc_u32_e32 v1, v16, v18
	v_add_nc_u32_e32 v21, v20, v10
	s_delay_alu instid0(VALU_DEP_1) | instskip(NEXT) | instid1(VALU_DEP_1)
	v_add_nc_u32_e32 v10, v21, v11
	v_add_nc_u32_e32 v11, v10, v12
	s_delay_alu instid0(VALU_DEP_1) | instskip(NEXT) | instid1(VALU_DEP_1)
	;; [unrolled: 3-line block ×6, first 2 shown]
	v_add_nc_u32_e32 v4, v3, v5
	v_add_nc_u32_e32 v5, v4, v14
	ds_store_2addr_b64 v1, v[20:21], v[10:11] offset1:1
	ds_store_2addr_b64 v1, v[12:13], v[6:7] offset0:2 offset1:3
	ds_store_2addr_b64 v1, v[8:9], v[2:3] offset0:4 offset1:5
	ds_store_b64 v1, v[4:5] offset:48
	s_wait_dscnt 0x0
	s_barrier_signal -1
	s_barrier_wait -1
	ds_load_2addr_stride64_b32 v[12:13], v16 offset0:4 offset1:8
	ds_load_2addr_stride64_b32 v[10:11], v16 offset0:12 offset1:16
	ds_load_2addr_stride64_b32 v[8:9], v16 offset0:20 offset1:24
	ds_load_2addr_stride64_b32 v[6:7], v16 offset0:28 offset1:32
	ds_load_2addr_stride64_b32 v[4:5], v16 offset0:36 offset1:40
	ds_load_2addr_stride64_b32 v[2:3], v16 offset0:44 offset1:48
	ds_load_b32 v14, v16 offset:13312
	v_mov_b32_e32 v1, 0
	s_delay_alu instid0(VALU_DEP_1)
	v_add_nc_u64_e32 v[0:1], s[16:17], v[0:1]
	s_and_saveexec_b32 s0, vcc_lo
	s_cbranch_execnz .LBB57_49
; %bb.35:
	s_or_b32 exec_lo, exec_lo, s0
	s_and_saveexec_b32 s0, s2
	s_cbranch_execnz .LBB57_50
.LBB57_36:
	s_or_b32 exec_lo, exec_lo, s0
	s_and_saveexec_b32 s0, s3
	s_cbranch_execnz .LBB57_51
.LBB57_37:
	s_or_b32 exec_lo, exec_lo, s0
	s_and_saveexec_b32 s0, s4
	s_cbranch_execnz .LBB57_52
.LBB57_38:
	s_or_b32 exec_lo, exec_lo, s0
	s_and_saveexec_b32 s0, s5
	s_cbranch_execnz .LBB57_53
.LBB57_39:
	s_or_b32 exec_lo, exec_lo, s0
	s_and_saveexec_b32 s0, s6
	s_cbranch_execnz .LBB57_54
.LBB57_40:
	s_or_b32 exec_lo, exec_lo, s0
	s_and_saveexec_b32 s0, s7
	s_cbranch_execnz .LBB57_55
.LBB57_41:
	s_or_b32 exec_lo, exec_lo, s0
	s_and_saveexec_b32 s0, s8
	s_cbranch_execnz .LBB57_56
.LBB57_42:
	s_or_b32 exec_lo, exec_lo, s0
	s_and_saveexec_b32 s0, s9
	s_cbranch_execnz .LBB57_57
.LBB57_43:
	s_or_b32 exec_lo, exec_lo, s0
	s_and_saveexec_b32 s0, s10
	s_cbranch_execnz .LBB57_58
.LBB57_44:
	s_or_b32 exec_lo, exec_lo, s0
	s_and_saveexec_b32 s0, s11
	s_cbranch_execnz .LBB57_59
.LBB57_45:
	s_or_b32 exec_lo, exec_lo, s0
	s_and_saveexec_b32 s0, s12
	s_cbranch_execnz .LBB57_60
.LBB57_46:
	s_or_b32 exec_lo, exec_lo, s0
	s_and_saveexec_b32 s0, s13
	s_cbranch_execnz .LBB57_61
.LBB57_47:
	s_or_b32 exec_lo, exec_lo, s0
	s_and_saveexec_b32 s0, s14
	s_cbranch_execnz .LBB57_62
.LBB57_48:
	s_endpgm
.LBB57_49:
	ds_load_b32 v15, v16
	s_wait_dscnt 0x0
	global_store_b32 v[0:1], v15, off
	s_wait_xcnt 0x0
	s_or_b32 exec_lo, exec_lo, s0
	s_and_saveexec_b32 s0, s2
	s_cbranch_execz .LBB57_36
.LBB57_50:
	s_wait_dscnt 0x6
	global_store_b32 v[0:1], v12, off offset:1024
	s_wait_xcnt 0x0
	s_or_b32 exec_lo, exec_lo, s0
	s_and_saveexec_b32 s0, s3
	s_cbranch_execz .LBB57_37
.LBB57_51:
	s_wait_dscnt 0x6
	global_store_b32 v[0:1], v13, off offset:2048
	s_wait_xcnt 0x0
	s_or_b32 exec_lo, exec_lo, s0
	s_and_saveexec_b32 s0, s4
	s_cbranch_execz .LBB57_38
.LBB57_52:
	s_wait_dscnt 0x5
	global_store_b32 v[0:1], v10, off offset:3072
	s_wait_xcnt 0x0
	s_or_b32 exec_lo, exec_lo, s0
	s_and_saveexec_b32 s0, s5
	s_cbranch_execz .LBB57_39
.LBB57_53:
	s_wait_dscnt 0x5
	global_store_b32 v[0:1], v11, off offset:4096
	s_wait_xcnt 0x0
	s_or_b32 exec_lo, exec_lo, s0
	s_and_saveexec_b32 s0, s6
	s_cbranch_execz .LBB57_40
.LBB57_54:
	s_wait_dscnt 0x4
	global_store_b32 v[0:1], v8, off offset:5120
	s_wait_xcnt 0x0
	s_or_b32 exec_lo, exec_lo, s0
	s_and_saveexec_b32 s0, s7
	s_cbranch_execz .LBB57_41
.LBB57_55:
	s_wait_dscnt 0x4
	global_store_b32 v[0:1], v9, off offset:6144
	s_wait_xcnt 0x0
	s_or_b32 exec_lo, exec_lo, s0
	s_and_saveexec_b32 s0, s8
	s_cbranch_execz .LBB57_42
.LBB57_56:
	s_wait_dscnt 0x3
	global_store_b32 v[0:1], v6, off offset:7168
	s_wait_xcnt 0x0
	s_or_b32 exec_lo, exec_lo, s0
	s_and_saveexec_b32 s0, s9
	s_cbranch_execz .LBB57_43
.LBB57_57:
	s_wait_dscnt 0x3
	global_store_b32 v[0:1], v7, off offset:8192
	s_wait_xcnt 0x0
	s_or_b32 exec_lo, exec_lo, s0
	s_and_saveexec_b32 s0, s10
	s_cbranch_execz .LBB57_44
.LBB57_58:
	s_wait_dscnt 0x2
	global_store_b32 v[0:1], v4, off offset:9216
	s_wait_xcnt 0x0
	s_or_b32 exec_lo, exec_lo, s0
	s_and_saveexec_b32 s0, s11
	s_cbranch_execz .LBB57_45
.LBB57_59:
	s_wait_dscnt 0x2
	global_store_b32 v[0:1], v5, off offset:10240
	s_wait_xcnt 0x0
	s_or_b32 exec_lo, exec_lo, s0
	s_and_saveexec_b32 s0, s12
	s_cbranch_execz .LBB57_46
.LBB57_60:
	s_wait_dscnt 0x1
	global_store_b32 v[0:1], v2, off offset:11264
	s_wait_xcnt 0x0
	s_or_b32 exec_lo, exec_lo, s0
	s_and_saveexec_b32 s0, s13
	s_cbranch_execz .LBB57_47
.LBB57_61:
	s_wait_dscnt 0x1
	global_store_b32 v[0:1], v3, off offset:12288
	s_wait_xcnt 0x0
	s_or_b32 exec_lo, exec_lo, s0
	s_and_saveexec_b32 s0, s14
	s_cbranch_execz .LBB57_48
.LBB57_62:
	s_wait_dscnt 0x0
	global_store_b32 v[0:1], v14, off offset:13312
	s_endpgm
	.section	.rodata,"a",@progbits
	.p2align	6, 0x0
	.amdhsa_kernel _ZN7rocprim17ROCPRIM_400000_NS6detail17trampoline_kernelINS0_14default_configENS1_20scan_config_selectorIjEEZZNS1_9scan_implILNS1_25lookback_scan_determinismE0ELb1ELb1ES3_PjS8_jN6hipcub16HIPCUB_304000_NS3SumEjEEDaPvRmT3_T4_T5_mT6_P12ihipStream_tbENKUlT_T0_E_clISt17integral_constantIbLb1EESO_IbLb0EEEEDaSK_SL_EUlSK_E0_NS1_11comp_targetILNS1_3genE0ELNS1_11target_archE4294967295ELNS1_3gpuE0ELNS1_3repE0EEENS1_30default_config_static_selectorELNS0_4arch9wavefront6targetE0EEEvT1_
		.amdhsa_group_segment_fixed_size 14336
		.amdhsa_private_segment_fixed_size 0
		.amdhsa_kernarg_size 32
		.amdhsa_user_sgpr_count 2
		.amdhsa_user_sgpr_dispatch_ptr 0
		.amdhsa_user_sgpr_queue_ptr 0
		.amdhsa_user_sgpr_kernarg_segment_ptr 1
		.amdhsa_user_sgpr_dispatch_id 0
		.amdhsa_user_sgpr_kernarg_preload_length 0
		.amdhsa_user_sgpr_kernarg_preload_offset 0
		.amdhsa_user_sgpr_private_segment_size 0
		.amdhsa_wavefront_size32 1
		.amdhsa_uses_dynamic_stack 0
		.amdhsa_enable_private_segment 0
		.amdhsa_system_sgpr_workgroup_id_x 1
		.amdhsa_system_sgpr_workgroup_id_y 0
		.amdhsa_system_sgpr_workgroup_id_z 0
		.amdhsa_system_sgpr_workgroup_info 0
		.amdhsa_system_vgpr_workitem_id 0
		.amdhsa_next_free_vgpr 22
		.amdhsa_next_free_sgpr 20
		.amdhsa_named_barrier_count 0
		.amdhsa_reserve_vcc 1
		.amdhsa_float_round_mode_32 0
		.amdhsa_float_round_mode_16_64 0
		.amdhsa_float_denorm_mode_32 3
		.amdhsa_float_denorm_mode_16_64 3
		.amdhsa_fp16_overflow 0
		.amdhsa_memory_ordered 1
		.amdhsa_forward_progress 1
		.amdhsa_inst_pref_size 19
		.amdhsa_round_robin_scheduling 0
		.amdhsa_exception_fp_ieee_invalid_op 0
		.amdhsa_exception_fp_denorm_src 0
		.amdhsa_exception_fp_ieee_div_zero 0
		.amdhsa_exception_fp_ieee_overflow 0
		.amdhsa_exception_fp_ieee_underflow 0
		.amdhsa_exception_fp_ieee_inexact 0
		.amdhsa_exception_int_div_zero 0
	.end_amdhsa_kernel
	.section	.text._ZN7rocprim17ROCPRIM_400000_NS6detail17trampoline_kernelINS0_14default_configENS1_20scan_config_selectorIjEEZZNS1_9scan_implILNS1_25lookback_scan_determinismE0ELb1ELb1ES3_PjS8_jN6hipcub16HIPCUB_304000_NS3SumEjEEDaPvRmT3_T4_T5_mT6_P12ihipStream_tbENKUlT_T0_E_clISt17integral_constantIbLb1EESO_IbLb0EEEEDaSK_SL_EUlSK_E0_NS1_11comp_targetILNS1_3genE0ELNS1_11target_archE4294967295ELNS1_3gpuE0ELNS1_3repE0EEENS1_30default_config_static_selectorELNS0_4arch9wavefront6targetE0EEEvT1_,"axG",@progbits,_ZN7rocprim17ROCPRIM_400000_NS6detail17trampoline_kernelINS0_14default_configENS1_20scan_config_selectorIjEEZZNS1_9scan_implILNS1_25lookback_scan_determinismE0ELb1ELb1ES3_PjS8_jN6hipcub16HIPCUB_304000_NS3SumEjEEDaPvRmT3_T4_T5_mT6_P12ihipStream_tbENKUlT_T0_E_clISt17integral_constantIbLb1EESO_IbLb0EEEEDaSK_SL_EUlSK_E0_NS1_11comp_targetILNS1_3genE0ELNS1_11target_archE4294967295ELNS1_3gpuE0ELNS1_3repE0EEENS1_30default_config_static_selectorELNS0_4arch9wavefront6targetE0EEEvT1_,comdat
.Lfunc_end57:
	.size	_ZN7rocprim17ROCPRIM_400000_NS6detail17trampoline_kernelINS0_14default_configENS1_20scan_config_selectorIjEEZZNS1_9scan_implILNS1_25lookback_scan_determinismE0ELb1ELb1ES3_PjS8_jN6hipcub16HIPCUB_304000_NS3SumEjEEDaPvRmT3_T4_T5_mT6_P12ihipStream_tbENKUlT_T0_E_clISt17integral_constantIbLb1EESO_IbLb0EEEEDaSK_SL_EUlSK_E0_NS1_11comp_targetILNS1_3genE0ELNS1_11target_archE4294967295ELNS1_3gpuE0ELNS1_3repE0EEENS1_30default_config_static_selectorELNS0_4arch9wavefront6targetE0EEEvT1_, .Lfunc_end57-_ZN7rocprim17ROCPRIM_400000_NS6detail17trampoline_kernelINS0_14default_configENS1_20scan_config_selectorIjEEZZNS1_9scan_implILNS1_25lookback_scan_determinismE0ELb1ELb1ES3_PjS8_jN6hipcub16HIPCUB_304000_NS3SumEjEEDaPvRmT3_T4_T5_mT6_P12ihipStream_tbENKUlT_T0_E_clISt17integral_constantIbLb1EESO_IbLb0EEEEDaSK_SL_EUlSK_E0_NS1_11comp_targetILNS1_3genE0ELNS1_11target_archE4294967295ELNS1_3gpuE0ELNS1_3repE0EEENS1_30default_config_static_selectorELNS0_4arch9wavefront6targetE0EEEvT1_
                                        ; -- End function
	.set _ZN7rocprim17ROCPRIM_400000_NS6detail17trampoline_kernelINS0_14default_configENS1_20scan_config_selectorIjEEZZNS1_9scan_implILNS1_25lookback_scan_determinismE0ELb1ELb1ES3_PjS8_jN6hipcub16HIPCUB_304000_NS3SumEjEEDaPvRmT3_T4_T5_mT6_P12ihipStream_tbENKUlT_T0_E_clISt17integral_constantIbLb1EESO_IbLb0EEEEDaSK_SL_EUlSK_E0_NS1_11comp_targetILNS1_3genE0ELNS1_11target_archE4294967295ELNS1_3gpuE0ELNS1_3repE0EEENS1_30default_config_static_selectorELNS0_4arch9wavefront6targetE0EEEvT1_.num_vgpr, 22
	.set _ZN7rocprim17ROCPRIM_400000_NS6detail17trampoline_kernelINS0_14default_configENS1_20scan_config_selectorIjEEZZNS1_9scan_implILNS1_25lookback_scan_determinismE0ELb1ELb1ES3_PjS8_jN6hipcub16HIPCUB_304000_NS3SumEjEEDaPvRmT3_T4_T5_mT6_P12ihipStream_tbENKUlT_T0_E_clISt17integral_constantIbLb1EESO_IbLb0EEEEDaSK_SL_EUlSK_E0_NS1_11comp_targetILNS1_3genE0ELNS1_11target_archE4294967295ELNS1_3gpuE0ELNS1_3repE0EEENS1_30default_config_static_selectorELNS0_4arch9wavefront6targetE0EEEvT1_.num_agpr, 0
	.set _ZN7rocprim17ROCPRIM_400000_NS6detail17trampoline_kernelINS0_14default_configENS1_20scan_config_selectorIjEEZZNS1_9scan_implILNS1_25lookback_scan_determinismE0ELb1ELb1ES3_PjS8_jN6hipcub16HIPCUB_304000_NS3SumEjEEDaPvRmT3_T4_T5_mT6_P12ihipStream_tbENKUlT_T0_E_clISt17integral_constantIbLb1EESO_IbLb0EEEEDaSK_SL_EUlSK_E0_NS1_11comp_targetILNS1_3genE0ELNS1_11target_archE4294967295ELNS1_3gpuE0ELNS1_3repE0EEENS1_30default_config_static_selectorELNS0_4arch9wavefront6targetE0EEEvT1_.numbered_sgpr, 20
	.set _ZN7rocprim17ROCPRIM_400000_NS6detail17trampoline_kernelINS0_14default_configENS1_20scan_config_selectorIjEEZZNS1_9scan_implILNS1_25lookback_scan_determinismE0ELb1ELb1ES3_PjS8_jN6hipcub16HIPCUB_304000_NS3SumEjEEDaPvRmT3_T4_T5_mT6_P12ihipStream_tbENKUlT_T0_E_clISt17integral_constantIbLb1EESO_IbLb0EEEEDaSK_SL_EUlSK_E0_NS1_11comp_targetILNS1_3genE0ELNS1_11target_archE4294967295ELNS1_3gpuE0ELNS1_3repE0EEENS1_30default_config_static_selectorELNS0_4arch9wavefront6targetE0EEEvT1_.num_named_barrier, 0
	.set _ZN7rocprim17ROCPRIM_400000_NS6detail17trampoline_kernelINS0_14default_configENS1_20scan_config_selectorIjEEZZNS1_9scan_implILNS1_25lookback_scan_determinismE0ELb1ELb1ES3_PjS8_jN6hipcub16HIPCUB_304000_NS3SumEjEEDaPvRmT3_T4_T5_mT6_P12ihipStream_tbENKUlT_T0_E_clISt17integral_constantIbLb1EESO_IbLb0EEEEDaSK_SL_EUlSK_E0_NS1_11comp_targetILNS1_3genE0ELNS1_11target_archE4294967295ELNS1_3gpuE0ELNS1_3repE0EEENS1_30default_config_static_selectorELNS0_4arch9wavefront6targetE0EEEvT1_.private_seg_size, 0
	.set _ZN7rocprim17ROCPRIM_400000_NS6detail17trampoline_kernelINS0_14default_configENS1_20scan_config_selectorIjEEZZNS1_9scan_implILNS1_25lookback_scan_determinismE0ELb1ELb1ES3_PjS8_jN6hipcub16HIPCUB_304000_NS3SumEjEEDaPvRmT3_T4_T5_mT6_P12ihipStream_tbENKUlT_T0_E_clISt17integral_constantIbLb1EESO_IbLb0EEEEDaSK_SL_EUlSK_E0_NS1_11comp_targetILNS1_3genE0ELNS1_11target_archE4294967295ELNS1_3gpuE0ELNS1_3repE0EEENS1_30default_config_static_selectorELNS0_4arch9wavefront6targetE0EEEvT1_.uses_vcc, 1
	.set _ZN7rocprim17ROCPRIM_400000_NS6detail17trampoline_kernelINS0_14default_configENS1_20scan_config_selectorIjEEZZNS1_9scan_implILNS1_25lookback_scan_determinismE0ELb1ELb1ES3_PjS8_jN6hipcub16HIPCUB_304000_NS3SumEjEEDaPvRmT3_T4_T5_mT6_P12ihipStream_tbENKUlT_T0_E_clISt17integral_constantIbLb1EESO_IbLb0EEEEDaSK_SL_EUlSK_E0_NS1_11comp_targetILNS1_3genE0ELNS1_11target_archE4294967295ELNS1_3gpuE0ELNS1_3repE0EEENS1_30default_config_static_selectorELNS0_4arch9wavefront6targetE0EEEvT1_.uses_flat_scratch, 0
	.set _ZN7rocprim17ROCPRIM_400000_NS6detail17trampoline_kernelINS0_14default_configENS1_20scan_config_selectorIjEEZZNS1_9scan_implILNS1_25lookback_scan_determinismE0ELb1ELb1ES3_PjS8_jN6hipcub16HIPCUB_304000_NS3SumEjEEDaPvRmT3_T4_T5_mT6_P12ihipStream_tbENKUlT_T0_E_clISt17integral_constantIbLb1EESO_IbLb0EEEEDaSK_SL_EUlSK_E0_NS1_11comp_targetILNS1_3genE0ELNS1_11target_archE4294967295ELNS1_3gpuE0ELNS1_3repE0EEENS1_30default_config_static_selectorELNS0_4arch9wavefront6targetE0EEEvT1_.has_dyn_sized_stack, 0
	.set _ZN7rocprim17ROCPRIM_400000_NS6detail17trampoline_kernelINS0_14default_configENS1_20scan_config_selectorIjEEZZNS1_9scan_implILNS1_25lookback_scan_determinismE0ELb1ELb1ES3_PjS8_jN6hipcub16HIPCUB_304000_NS3SumEjEEDaPvRmT3_T4_T5_mT6_P12ihipStream_tbENKUlT_T0_E_clISt17integral_constantIbLb1EESO_IbLb0EEEEDaSK_SL_EUlSK_E0_NS1_11comp_targetILNS1_3genE0ELNS1_11target_archE4294967295ELNS1_3gpuE0ELNS1_3repE0EEENS1_30default_config_static_selectorELNS0_4arch9wavefront6targetE0EEEvT1_.has_recursion, 0
	.set _ZN7rocprim17ROCPRIM_400000_NS6detail17trampoline_kernelINS0_14default_configENS1_20scan_config_selectorIjEEZZNS1_9scan_implILNS1_25lookback_scan_determinismE0ELb1ELb1ES3_PjS8_jN6hipcub16HIPCUB_304000_NS3SumEjEEDaPvRmT3_T4_T5_mT6_P12ihipStream_tbENKUlT_T0_E_clISt17integral_constantIbLb1EESO_IbLb0EEEEDaSK_SL_EUlSK_E0_NS1_11comp_targetILNS1_3genE0ELNS1_11target_archE4294967295ELNS1_3gpuE0ELNS1_3repE0EEENS1_30default_config_static_selectorELNS0_4arch9wavefront6targetE0EEEvT1_.has_indirect_call, 0
	.section	.AMDGPU.csdata,"",@progbits
; Kernel info:
; codeLenInByte = 2320
; TotalNumSgprs: 22
; NumVgprs: 22
; ScratchSize: 0
; MemoryBound: 0
; FloatMode: 240
; IeeeMode: 1
; LDSByteSize: 14336 bytes/workgroup (compile time only)
; SGPRBlocks: 0
; VGPRBlocks: 1
; NumSGPRsForWavesPerEU: 22
; NumVGPRsForWavesPerEU: 22
; NamedBarCnt: 0
; Occupancy: 16
; WaveLimiterHint : 0
; COMPUTE_PGM_RSRC2:SCRATCH_EN: 0
; COMPUTE_PGM_RSRC2:USER_SGPR: 2
; COMPUTE_PGM_RSRC2:TRAP_HANDLER: 0
; COMPUTE_PGM_RSRC2:TGID_X_EN: 1
; COMPUTE_PGM_RSRC2:TGID_Y_EN: 0
; COMPUTE_PGM_RSRC2:TGID_Z_EN: 0
; COMPUTE_PGM_RSRC2:TIDIG_COMP_CNT: 0
	.section	.text._ZN7rocprim17ROCPRIM_400000_NS6detail17trampoline_kernelINS0_14default_configENS1_20scan_config_selectorIjEEZZNS1_9scan_implILNS1_25lookback_scan_determinismE0ELb1ELb1ES3_PjS8_jN6hipcub16HIPCUB_304000_NS3SumEjEEDaPvRmT3_T4_T5_mT6_P12ihipStream_tbENKUlT_T0_E_clISt17integral_constantIbLb1EESO_IbLb0EEEEDaSK_SL_EUlSK_E0_NS1_11comp_targetILNS1_3genE5ELNS1_11target_archE942ELNS1_3gpuE9ELNS1_3repE0EEENS1_30default_config_static_selectorELNS0_4arch9wavefront6targetE0EEEvT1_,"axG",@progbits,_ZN7rocprim17ROCPRIM_400000_NS6detail17trampoline_kernelINS0_14default_configENS1_20scan_config_selectorIjEEZZNS1_9scan_implILNS1_25lookback_scan_determinismE0ELb1ELb1ES3_PjS8_jN6hipcub16HIPCUB_304000_NS3SumEjEEDaPvRmT3_T4_T5_mT6_P12ihipStream_tbENKUlT_T0_E_clISt17integral_constantIbLb1EESO_IbLb0EEEEDaSK_SL_EUlSK_E0_NS1_11comp_targetILNS1_3genE5ELNS1_11target_archE942ELNS1_3gpuE9ELNS1_3repE0EEENS1_30default_config_static_selectorELNS0_4arch9wavefront6targetE0EEEvT1_,comdat
	.protected	_ZN7rocprim17ROCPRIM_400000_NS6detail17trampoline_kernelINS0_14default_configENS1_20scan_config_selectorIjEEZZNS1_9scan_implILNS1_25lookback_scan_determinismE0ELb1ELb1ES3_PjS8_jN6hipcub16HIPCUB_304000_NS3SumEjEEDaPvRmT3_T4_T5_mT6_P12ihipStream_tbENKUlT_T0_E_clISt17integral_constantIbLb1EESO_IbLb0EEEEDaSK_SL_EUlSK_E0_NS1_11comp_targetILNS1_3genE5ELNS1_11target_archE942ELNS1_3gpuE9ELNS1_3repE0EEENS1_30default_config_static_selectorELNS0_4arch9wavefront6targetE0EEEvT1_ ; -- Begin function _ZN7rocprim17ROCPRIM_400000_NS6detail17trampoline_kernelINS0_14default_configENS1_20scan_config_selectorIjEEZZNS1_9scan_implILNS1_25lookback_scan_determinismE0ELb1ELb1ES3_PjS8_jN6hipcub16HIPCUB_304000_NS3SumEjEEDaPvRmT3_T4_T5_mT6_P12ihipStream_tbENKUlT_T0_E_clISt17integral_constantIbLb1EESO_IbLb0EEEEDaSK_SL_EUlSK_E0_NS1_11comp_targetILNS1_3genE5ELNS1_11target_archE942ELNS1_3gpuE9ELNS1_3repE0EEENS1_30default_config_static_selectorELNS0_4arch9wavefront6targetE0EEEvT1_
	.globl	_ZN7rocprim17ROCPRIM_400000_NS6detail17trampoline_kernelINS0_14default_configENS1_20scan_config_selectorIjEEZZNS1_9scan_implILNS1_25lookback_scan_determinismE0ELb1ELb1ES3_PjS8_jN6hipcub16HIPCUB_304000_NS3SumEjEEDaPvRmT3_T4_T5_mT6_P12ihipStream_tbENKUlT_T0_E_clISt17integral_constantIbLb1EESO_IbLb0EEEEDaSK_SL_EUlSK_E0_NS1_11comp_targetILNS1_3genE5ELNS1_11target_archE942ELNS1_3gpuE9ELNS1_3repE0EEENS1_30default_config_static_selectorELNS0_4arch9wavefront6targetE0EEEvT1_
	.p2align	8
	.type	_ZN7rocprim17ROCPRIM_400000_NS6detail17trampoline_kernelINS0_14default_configENS1_20scan_config_selectorIjEEZZNS1_9scan_implILNS1_25lookback_scan_determinismE0ELb1ELb1ES3_PjS8_jN6hipcub16HIPCUB_304000_NS3SumEjEEDaPvRmT3_T4_T5_mT6_P12ihipStream_tbENKUlT_T0_E_clISt17integral_constantIbLb1EESO_IbLb0EEEEDaSK_SL_EUlSK_E0_NS1_11comp_targetILNS1_3genE5ELNS1_11target_archE942ELNS1_3gpuE9ELNS1_3repE0EEENS1_30default_config_static_selectorELNS0_4arch9wavefront6targetE0EEEvT1_,@function
_ZN7rocprim17ROCPRIM_400000_NS6detail17trampoline_kernelINS0_14default_configENS1_20scan_config_selectorIjEEZZNS1_9scan_implILNS1_25lookback_scan_determinismE0ELb1ELb1ES3_PjS8_jN6hipcub16HIPCUB_304000_NS3SumEjEEDaPvRmT3_T4_T5_mT6_P12ihipStream_tbENKUlT_T0_E_clISt17integral_constantIbLb1EESO_IbLb0EEEEDaSK_SL_EUlSK_E0_NS1_11comp_targetILNS1_3genE5ELNS1_11target_archE942ELNS1_3gpuE9ELNS1_3repE0EEENS1_30default_config_static_selectorELNS0_4arch9wavefront6targetE0EEEvT1_: ; @_ZN7rocprim17ROCPRIM_400000_NS6detail17trampoline_kernelINS0_14default_configENS1_20scan_config_selectorIjEEZZNS1_9scan_implILNS1_25lookback_scan_determinismE0ELb1ELb1ES3_PjS8_jN6hipcub16HIPCUB_304000_NS3SumEjEEDaPvRmT3_T4_T5_mT6_P12ihipStream_tbENKUlT_T0_E_clISt17integral_constantIbLb1EESO_IbLb0EEEEDaSK_SL_EUlSK_E0_NS1_11comp_targetILNS1_3genE5ELNS1_11target_archE942ELNS1_3gpuE9ELNS1_3repE0EEENS1_30default_config_static_selectorELNS0_4arch9wavefront6targetE0EEEvT1_
; %bb.0:
	.section	.rodata,"a",@progbits
	.p2align	6, 0x0
	.amdhsa_kernel _ZN7rocprim17ROCPRIM_400000_NS6detail17trampoline_kernelINS0_14default_configENS1_20scan_config_selectorIjEEZZNS1_9scan_implILNS1_25lookback_scan_determinismE0ELb1ELb1ES3_PjS8_jN6hipcub16HIPCUB_304000_NS3SumEjEEDaPvRmT3_T4_T5_mT6_P12ihipStream_tbENKUlT_T0_E_clISt17integral_constantIbLb1EESO_IbLb0EEEEDaSK_SL_EUlSK_E0_NS1_11comp_targetILNS1_3genE5ELNS1_11target_archE942ELNS1_3gpuE9ELNS1_3repE0EEENS1_30default_config_static_selectorELNS0_4arch9wavefront6targetE0EEEvT1_
		.amdhsa_group_segment_fixed_size 0
		.amdhsa_private_segment_fixed_size 0
		.amdhsa_kernarg_size 32
		.amdhsa_user_sgpr_count 2
		.amdhsa_user_sgpr_dispatch_ptr 0
		.amdhsa_user_sgpr_queue_ptr 0
		.amdhsa_user_sgpr_kernarg_segment_ptr 1
		.amdhsa_user_sgpr_dispatch_id 0
		.amdhsa_user_sgpr_kernarg_preload_length 0
		.amdhsa_user_sgpr_kernarg_preload_offset 0
		.amdhsa_user_sgpr_private_segment_size 0
		.amdhsa_wavefront_size32 1
		.amdhsa_uses_dynamic_stack 0
		.amdhsa_enable_private_segment 0
		.amdhsa_system_sgpr_workgroup_id_x 1
		.amdhsa_system_sgpr_workgroup_id_y 0
		.amdhsa_system_sgpr_workgroup_id_z 0
		.amdhsa_system_sgpr_workgroup_info 0
		.amdhsa_system_vgpr_workitem_id 0
		.amdhsa_next_free_vgpr 1
		.amdhsa_next_free_sgpr 1
		.amdhsa_named_barrier_count 0
		.amdhsa_reserve_vcc 0
		.amdhsa_float_round_mode_32 0
		.amdhsa_float_round_mode_16_64 0
		.amdhsa_float_denorm_mode_32 3
		.amdhsa_float_denorm_mode_16_64 3
		.amdhsa_fp16_overflow 0
		.amdhsa_memory_ordered 1
		.amdhsa_forward_progress 1
		.amdhsa_inst_pref_size 0
		.amdhsa_round_robin_scheduling 0
		.amdhsa_exception_fp_ieee_invalid_op 0
		.amdhsa_exception_fp_denorm_src 0
		.amdhsa_exception_fp_ieee_div_zero 0
		.amdhsa_exception_fp_ieee_overflow 0
		.amdhsa_exception_fp_ieee_underflow 0
		.amdhsa_exception_fp_ieee_inexact 0
		.amdhsa_exception_int_div_zero 0
	.end_amdhsa_kernel
	.section	.text._ZN7rocprim17ROCPRIM_400000_NS6detail17trampoline_kernelINS0_14default_configENS1_20scan_config_selectorIjEEZZNS1_9scan_implILNS1_25lookback_scan_determinismE0ELb1ELb1ES3_PjS8_jN6hipcub16HIPCUB_304000_NS3SumEjEEDaPvRmT3_T4_T5_mT6_P12ihipStream_tbENKUlT_T0_E_clISt17integral_constantIbLb1EESO_IbLb0EEEEDaSK_SL_EUlSK_E0_NS1_11comp_targetILNS1_3genE5ELNS1_11target_archE942ELNS1_3gpuE9ELNS1_3repE0EEENS1_30default_config_static_selectorELNS0_4arch9wavefront6targetE0EEEvT1_,"axG",@progbits,_ZN7rocprim17ROCPRIM_400000_NS6detail17trampoline_kernelINS0_14default_configENS1_20scan_config_selectorIjEEZZNS1_9scan_implILNS1_25lookback_scan_determinismE0ELb1ELb1ES3_PjS8_jN6hipcub16HIPCUB_304000_NS3SumEjEEDaPvRmT3_T4_T5_mT6_P12ihipStream_tbENKUlT_T0_E_clISt17integral_constantIbLb1EESO_IbLb0EEEEDaSK_SL_EUlSK_E0_NS1_11comp_targetILNS1_3genE5ELNS1_11target_archE942ELNS1_3gpuE9ELNS1_3repE0EEENS1_30default_config_static_selectorELNS0_4arch9wavefront6targetE0EEEvT1_,comdat
.Lfunc_end58:
	.size	_ZN7rocprim17ROCPRIM_400000_NS6detail17trampoline_kernelINS0_14default_configENS1_20scan_config_selectorIjEEZZNS1_9scan_implILNS1_25lookback_scan_determinismE0ELb1ELb1ES3_PjS8_jN6hipcub16HIPCUB_304000_NS3SumEjEEDaPvRmT3_T4_T5_mT6_P12ihipStream_tbENKUlT_T0_E_clISt17integral_constantIbLb1EESO_IbLb0EEEEDaSK_SL_EUlSK_E0_NS1_11comp_targetILNS1_3genE5ELNS1_11target_archE942ELNS1_3gpuE9ELNS1_3repE0EEENS1_30default_config_static_selectorELNS0_4arch9wavefront6targetE0EEEvT1_, .Lfunc_end58-_ZN7rocprim17ROCPRIM_400000_NS6detail17trampoline_kernelINS0_14default_configENS1_20scan_config_selectorIjEEZZNS1_9scan_implILNS1_25lookback_scan_determinismE0ELb1ELb1ES3_PjS8_jN6hipcub16HIPCUB_304000_NS3SumEjEEDaPvRmT3_T4_T5_mT6_P12ihipStream_tbENKUlT_T0_E_clISt17integral_constantIbLb1EESO_IbLb0EEEEDaSK_SL_EUlSK_E0_NS1_11comp_targetILNS1_3genE5ELNS1_11target_archE942ELNS1_3gpuE9ELNS1_3repE0EEENS1_30default_config_static_selectorELNS0_4arch9wavefront6targetE0EEEvT1_
                                        ; -- End function
	.set _ZN7rocprim17ROCPRIM_400000_NS6detail17trampoline_kernelINS0_14default_configENS1_20scan_config_selectorIjEEZZNS1_9scan_implILNS1_25lookback_scan_determinismE0ELb1ELb1ES3_PjS8_jN6hipcub16HIPCUB_304000_NS3SumEjEEDaPvRmT3_T4_T5_mT6_P12ihipStream_tbENKUlT_T0_E_clISt17integral_constantIbLb1EESO_IbLb0EEEEDaSK_SL_EUlSK_E0_NS1_11comp_targetILNS1_3genE5ELNS1_11target_archE942ELNS1_3gpuE9ELNS1_3repE0EEENS1_30default_config_static_selectorELNS0_4arch9wavefront6targetE0EEEvT1_.num_vgpr, 0
	.set _ZN7rocprim17ROCPRIM_400000_NS6detail17trampoline_kernelINS0_14default_configENS1_20scan_config_selectorIjEEZZNS1_9scan_implILNS1_25lookback_scan_determinismE0ELb1ELb1ES3_PjS8_jN6hipcub16HIPCUB_304000_NS3SumEjEEDaPvRmT3_T4_T5_mT6_P12ihipStream_tbENKUlT_T0_E_clISt17integral_constantIbLb1EESO_IbLb0EEEEDaSK_SL_EUlSK_E0_NS1_11comp_targetILNS1_3genE5ELNS1_11target_archE942ELNS1_3gpuE9ELNS1_3repE0EEENS1_30default_config_static_selectorELNS0_4arch9wavefront6targetE0EEEvT1_.num_agpr, 0
	.set _ZN7rocprim17ROCPRIM_400000_NS6detail17trampoline_kernelINS0_14default_configENS1_20scan_config_selectorIjEEZZNS1_9scan_implILNS1_25lookback_scan_determinismE0ELb1ELb1ES3_PjS8_jN6hipcub16HIPCUB_304000_NS3SumEjEEDaPvRmT3_T4_T5_mT6_P12ihipStream_tbENKUlT_T0_E_clISt17integral_constantIbLb1EESO_IbLb0EEEEDaSK_SL_EUlSK_E0_NS1_11comp_targetILNS1_3genE5ELNS1_11target_archE942ELNS1_3gpuE9ELNS1_3repE0EEENS1_30default_config_static_selectorELNS0_4arch9wavefront6targetE0EEEvT1_.numbered_sgpr, 0
	.set _ZN7rocprim17ROCPRIM_400000_NS6detail17trampoline_kernelINS0_14default_configENS1_20scan_config_selectorIjEEZZNS1_9scan_implILNS1_25lookback_scan_determinismE0ELb1ELb1ES3_PjS8_jN6hipcub16HIPCUB_304000_NS3SumEjEEDaPvRmT3_T4_T5_mT6_P12ihipStream_tbENKUlT_T0_E_clISt17integral_constantIbLb1EESO_IbLb0EEEEDaSK_SL_EUlSK_E0_NS1_11comp_targetILNS1_3genE5ELNS1_11target_archE942ELNS1_3gpuE9ELNS1_3repE0EEENS1_30default_config_static_selectorELNS0_4arch9wavefront6targetE0EEEvT1_.num_named_barrier, 0
	.set _ZN7rocprim17ROCPRIM_400000_NS6detail17trampoline_kernelINS0_14default_configENS1_20scan_config_selectorIjEEZZNS1_9scan_implILNS1_25lookback_scan_determinismE0ELb1ELb1ES3_PjS8_jN6hipcub16HIPCUB_304000_NS3SumEjEEDaPvRmT3_T4_T5_mT6_P12ihipStream_tbENKUlT_T0_E_clISt17integral_constantIbLb1EESO_IbLb0EEEEDaSK_SL_EUlSK_E0_NS1_11comp_targetILNS1_3genE5ELNS1_11target_archE942ELNS1_3gpuE9ELNS1_3repE0EEENS1_30default_config_static_selectorELNS0_4arch9wavefront6targetE0EEEvT1_.private_seg_size, 0
	.set _ZN7rocprim17ROCPRIM_400000_NS6detail17trampoline_kernelINS0_14default_configENS1_20scan_config_selectorIjEEZZNS1_9scan_implILNS1_25lookback_scan_determinismE0ELb1ELb1ES3_PjS8_jN6hipcub16HIPCUB_304000_NS3SumEjEEDaPvRmT3_T4_T5_mT6_P12ihipStream_tbENKUlT_T0_E_clISt17integral_constantIbLb1EESO_IbLb0EEEEDaSK_SL_EUlSK_E0_NS1_11comp_targetILNS1_3genE5ELNS1_11target_archE942ELNS1_3gpuE9ELNS1_3repE0EEENS1_30default_config_static_selectorELNS0_4arch9wavefront6targetE0EEEvT1_.uses_vcc, 0
	.set _ZN7rocprim17ROCPRIM_400000_NS6detail17trampoline_kernelINS0_14default_configENS1_20scan_config_selectorIjEEZZNS1_9scan_implILNS1_25lookback_scan_determinismE0ELb1ELb1ES3_PjS8_jN6hipcub16HIPCUB_304000_NS3SumEjEEDaPvRmT3_T4_T5_mT6_P12ihipStream_tbENKUlT_T0_E_clISt17integral_constantIbLb1EESO_IbLb0EEEEDaSK_SL_EUlSK_E0_NS1_11comp_targetILNS1_3genE5ELNS1_11target_archE942ELNS1_3gpuE9ELNS1_3repE0EEENS1_30default_config_static_selectorELNS0_4arch9wavefront6targetE0EEEvT1_.uses_flat_scratch, 0
	.set _ZN7rocprim17ROCPRIM_400000_NS6detail17trampoline_kernelINS0_14default_configENS1_20scan_config_selectorIjEEZZNS1_9scan_implILNS1_25lookback_scan_determinismE0ELb1ELb1ES3_PjS8_jN6hipcub16HIPCUB_304000_NS3SumEjEEDaPvRmT3_T4_T5_mT6_P12ihipStream_tbENKUlT_T0_E_clISt17integral_constantIbLb1EESO_IbLb0EEEEDaSK_SL_EUlSK_E0_NS1_11comp_targetILNS1_3genE5ELNS1_11target_archE942ELNS1_3gpuE9ELNS1_3repE0EEENS1_30default_config_static_selectorELNS0_4arch9wavefront6targetE0EEEvT1_.has_dyn_sized_stack, 0
	.set _ZN7rocprim17ROCPRIM_400000_NS6detail17trampoline_kernelINS0_14default_configENS1_20scan_config_selectorIjEEZZNS1_9scan_implILNS1_25lookback_scan_determinismE0ELb1ELb1ES3_PjS8_jN6hipcub16HIPCUB_304000_NS3SumEjEEDaPvRmT3_T4_T5_mT6_P12ihipStream_tbENKUlT_T0_E_clISt17integral_constantIbLb1EESO_IbLb0EEEEDaSK_SL_EUlSK_E0_NS1_11comp_targetILNS1_3genE5ELNS1_11target_archE942ELNS1_3gpuE9ELNS1_3repE0EEENS1_30default_config_static_selectorELNS0_4arch9wavefront6targetE0EEEvT1_.has_recursion, 0
	.set _ZN7rocprim17ROCPRIM_400000_NS6detail17trampoline_kernelINS0_14default_configENS1_20scan_config_selectorIjEEZZNS1_9scan_implILNS1_25lookback_scan_determinismE0ELb1ELb1ES3_PjS8_jN6hipcub16HIPCUB_304000_NS3SumEjEEDaPvRmT3_T4_T5_mT6_P12ihipStream_tbENKUlT_T0_E_clISt17integral_constantIbLb1EESO_IbLb0EEEEDaSK_SL_EUlSK_E0_NS1_11comp_targetILNS1_3genE5ELNS1_11target_archE942ELNS1_3gpuE9ELNS1_3repE0EEENS1_30default_config_static_selectorELNS0_4arch9wavefront6targetE0EEEvT1_.has_indirect_call, 0
	.section	.AMDGPU.csdata,"",@progbits
; Kernel info:
; codeLenInByte = 0
; TotalNumSgprs: 0
; NumVgprs: 0
; ScratchSize: 0
; MemoryBound: 0
; FloatMode: 240
; IeeeMode: 1
; LDSByteSize: 0 bytes/workgroup (compile time only)
; SGPRBlocks: 0
; VGPRBlocks: 0
; NumSGPRsForWavesPerEU: 1
; NumVGPRsForWavesPerEU: 1
; NamedBarCnt: 0
; Occupancy: 16
; WaveLimiterHint : 0
; COMPUTE_PGM_RSRC2:SCRATCH_EN: 0
; COMPUTE_PGM_RSRC2:USER_SGPR: 2
; COMPUTE_PGM_RSRC2:TRAP_HANDLER: 0
; COMPUTE_PGM_RSRC2:TGID_X_EN: 1
; COMPUTE_PGM_RSRC2:TGID_Y_EN: 0
; COMPUTE_PGM_RSRC2:TGID_Z_EN: 0
; COMPUTE_PGM_RSRC2:TIDIG_COMP_CNT: 0
	.section	.text._ZN7rocprim17ROCPRIM_400000_NS6detail17trampoline_kernelINS0_14default_configENS1_20scan_config_selectorIjEEZZNS1_9scan_implILNS1_25lookback_scan_determinismE0ELb1ELb1ES3_PjS8_jN6hipcub16HIPCUB_304000_NS3SumEjEEDaPvRmT3_T4_T5_mT6_P12ihipStream_tbENKUlT_T0_E_clISt17integral_constantIbLb1EESO_IbLb0EEEEDaSK_SL_EUlSK_E0_NS1_11comp_targetILNS1_3genE4ELNS1_11target_archE910ELNS1_3gpuE8ELNS1_3repE0EEENS1_30default_config_static_selectorELNS0_4arch9wavefront6targetE0EEEvT1_,"axG",@progbits,_ZN7rocprim17ROCPRIM_400000_NS6detail17trampoline_kernelINS0_14default_configENS1_20scan_config_selectorIjEEZZNS1_9scan_implILNS1_25lookback_scan_determinismE0ELb1ELb1ES3_PjS8_jN6hipcub16HIPCUB_304000_NS3SumEjEEDaPvRmT3_T4_T5_mT6_P12ihipStream_tbENKUlT_T0_E_clISt17integral_constantIbLb1EESO_IbLb0EEEEDaSK_SL_EUlSK_E0_NS1_11comp_targetILNS1_3genE4ELNS1_11target_archE910ELNS1_3gpuE8ELNS1_3repE0EEENS1_30default_config_static_selectorELNS0_4arch9wavefront6targetE0EEEvT1_,comdat
	.protected	_ZN7rocprim17ROCPRIM_400000_NS6detail17trampoline_kernelINS0_14default_configENS1_20scan_config_selectorIjEEZZNS1_9scan_implILNS1_25lookback_scan_determinismE0ELb1ELb1ES3_PjS8_jN6hipcub16HIPCUB_304000_NS3SumEjEEDaPvRmT3_T4_T5_mT6_P12ihipStream_tbENKUlT_T0_E_clISt17integral_constantIbLb1EESO_IbLb0EEEEDaSK_SL_EUlSK_E0_NS1_11comp_targetILNS1_3genE4ELNS1_11target_archE910ELNS1_3gpuE8ELNS1_3repE0EEENS1_30default_config_static_selectorELNS0_4arch9wavefront6targetE0EEEvT1_ ; -- Begin function _ZN7rocprim17ROCPRIM_400000_NS6detail17trampoline_kernelINS0_14default_configENS1_20scan_config_selectorIjEEZZNS1_9scan_implILNS1_25lookback_scan_determinismE0ELb1ELb1ES3_PjS8_jN6hipcub16HIPCUB_304000_NS3SumEjEEDaPvRmT3_T4_T5_mT6_P12ihipStream_tbENKUlT_T0_E_clISt17integral_constantIbLb1EESO_IbLb0EEEEDaSK_SL_EUlSK_E0_NS1_11comp_targetILNS1_3genE4ELNS1_11target_archE910ELNS1_3gpuE8ELNS1_3repE0EEENS1_30default_config_static_selectorELNS0_4arch9wavefront6targetE0EEEvT1_
	.globl	_ZN7rocprim17ROCPRIM_400000_NS6detail17trampoline_kernelINS0_14default_configENS1_20scan_config_selectorIjEEZZNS1_9scan_implILNS1_25lookback_scan_determinismE0ELb1ELb1ES3_PjS8_jN6hipcub16HIPCUB_304000_NS3SumEjEEDaPvRmT3_T4_T5_mT6_P12ihipStream_tbENKUlT_T0_E_clISt17integral_constantIbLb1EESO_IbLb0EEEEDaSK_SL_EUlSK_E0_NS1_11comp_targetILNS1_3genE4ELNS1_11target_archE910ELNS1_3gpuE8ELNS1_3repE0EEENS1_30default_config_static_selectorELNS0_4arch9wavefront6targetE0EEEvT1_
	.p2align	8
	.type	_ZN7rocprim17ROCPRIM_400000_NS6detail17trampoline_kernelINS0_14default_configENS1_20scan_config_selectorIjEEZZNS1_9scan_implILNS1_25lookback_scan_determinismE0ELb1ELb1ES3_PjS8_jN6hipcub16HIPCUB_304000_NS3SumEjEEDaPvRmT3_T4_T5_mT6_P12ihipStream_tbENKUlT_T0_E_clISt17integral_constantIbLb1EESO_IbLb0EEEEDaSK_SL_EUlSK_E0_NS1_11comp_targetILNS1_3genE4ELNS1_11target_archE910ELNS1_3gpuE8ELNS1_3repE0EEENS1_30default_config_static_selectorELNS0_4arch9wavefront6targetE0EEEvT1_,@function
_ZN7rocprim17ROCPRIM_400000_NS6detail17trampoline_kernelINS0_14default_configENS1_20scan_config_selectorIjEEZZNS1_9scan_implILNS1_25lookback_scan_determinismE0ELb1ELb1ES3_PjS8_jN6hipcub16HIPCUB_304000_NS3SumEjEEDaPvRmT3_T4_T5_mT6_P12ihipStream_tbENKUlT_T0_E_clISt17integral_constantIbLb1EESO_IbLb0EEEEDaSK_SL_EUlSK_E0_NS1_11comp_targetILNS1_3genE4ELNS1_11target_archE910ELNS1_3gpuE8ELNS1_3repE0EEENS1_30default_config_static_selectorELNS0_4arch9wavefront6targetE0EEEvT1_: ; @_ZN7rocprim17ROCPRIM_400000_NS6detail17trampoline_kernelINS0_14default_configENS1_20scan_config_selectorIjEEZZNS1_9scan_implILNS1_25lookback_scan_determinismE0ELb1ELb1ES3_PjS8_jN6hipcub16HIPCUB_304000_NS3SumEjEEDaPvRmT3_T4_T5_mT6_P12ihipStream_tbENKUlT_T0_E_clISt17integral_constantIbLb1EESO_IbLb0EEEEDaSK_SL_EUlSK_E0_NS1_11comp_targetILNS1_3genE4ELNS1_11target_archE910ELNS1_3gpuE8ELNS1_3repE0EEENS1_30default_config_static_selectorELNS0_4arch9wavefront6targetE0EEEvT1_
; %bb.0:
	.section	.rodata,"a",@progbits
	.p2align	6, 0x0
	.amdhsa_kernel _ZN7rocprim17ROCPRIM_400000_NS6detail17trampoline_kernelINS0_14default_configENS1_20scan_config_selectorIjEEZZNS1_9scan_implILNS1_25lookback_scan_determinismE0ELb1ELb1ES3_PjS8_jN6hipcub16HIPCUB_304000_NS3SumEjEEDaPvRmT3_T4_T5_mT6_P12ihipStream_tbENKUlT_T0_E_clISt17integral_constantIbLb1EESO_IbLb0EEEEDaSK_SL_EUlSK_E0_NS1_11comp_targetILNS1_3genE4ELNS1_11target_archE910ELNS1_3gpuE8ELNS1_3repE0EEENS1_30default_config_static_selectorELNS0_4arch9wavefront6targetE0EEEvT1_
		.amdhsa_group_segment_fixed_size 0
		.amdhsa_private_segment_fixed_size 0
		.amdhsa_kernarg_size 32
		.amdhsa_user_sgpr_count 2
		.amdhsa_user_sgpr_dispatch_ptr 0
		.amdhsa_user_sgpr_queue_ptr 0
		.amdhsa_user_sgpr_kernarg_segment_ptr 1
		.amdhsa_user_sgpr_dispatch_id 0
		.amdhsa_user_sgpr_kernarg_preload_length 0
		.amdhsa_user_sgpr_kernarg_preload_offset 0
		.amdhsa_user_sgpr_private_segment_size 0
		.amdhsa_wavefront_size32 1
		.amdhsa_uses_dynamic_stack 0
		.amdhsa_enable_private_segment 0
		.amdhsa_system_sgpr_workgroup_id_x 1
		.amdhsa_system_sgpr_workgroup_id_y 0
		.amdhsa_system_sgpr_workgroup_id_z 0
		.amdhsa_system_sgpr_workgroup_info 0
		.amdhsa_system_vgpr_workitem_id 0
		.amdhsa_next_free_vgpr 1
		.amdhsa_next_free_sgpr 1
		.amdhsa_named_barrier_count 0
		.amdhsa_reserve_vcc 0
		.amdhsa_float_round_mode_32 0
		.amdhsa_float_round_mode_16_64 0
		.amdhsa_float_denorm_mode_32 3
		.amdhsa_float_denorm_mode_16_64 3
		.amdhsa_fp16_overflow 0
		.amdhsa_memory_ordered 1
		.amdhsa_forward_progress 1
		.amdhsa_inst_pref_size 0
		.amdhsa_round_robin_scheduling 0
		.amdhsa_exception_fp_ieee_invalid_op 0
		.amdhsa_exception_fp_denorm_src 0
		.amdhsa_exception_fp_ieee_div_zero 0
		.amdhsa_exception_fp_ieee_overflow 0
		.amdhsa_exception_fp_ieee_underflow 0
		.amdhsa_exception_fp_ieee_inexact 0
		.amdhsa_exception_int_div_zero 0
	.end_amdhsa_kernel
	.section	.text._ZN7rocprim17ROCPRIM_400000_NS6detail17trampoline_kernelINS0_14default_configENS1_20scan_config_selectorIjEEZZNS1_9scan_implILNS1_25lookback_scan_determinismE0ELb1ELb1ES3_PjS8_jN6hipcub16HIPCUB_304000_NS3SumEjEEDaPvRmT3_T4_T5_mT6_P12ihipStream_tbENKUlT_T0_E_clISt17integral_constantIbLb1EESO_IbLb0EEEEDaSK_SL_EUlSK_E0_NS1_11comp_targetILNS1_3genE4ELNS1_11target_archE910ELNS1_3gpuE8ELNS1_3repE0EEENS1_30default_config_static_selectorELNS0_4arch9wavefront6targetE0EEEvT1_,"axG",@progbits,_ZN7rocprim17ROCPRIM_400000_NS6detail17trampoline_kernelINS0_14default_configENS1_20scan_config_selectorIjEEZZNS1_9scan_implILNS1_25lookback_scan_determinismE0ELb1ELb1ES3_PjS8_jN6hipcub16HIPCUB_304000_NS3SumEjEEDaPvRmT3_T4_T5_mT6_P12ihipStream_tbENKUlT_T0_E_clISt17integral_constantIbLb1EESO_IbLb0EEEEDaSK_SL_EUlSK_E0_NS1_11comp_targetILNS1_3genE4ELNS1_11target_archE910ELNS1_3gpuE8ELNS1_3repE0EEENS1_30default_config_static_selectorELNS0_4arch9wavefront6targetE0EEEvT1_,comdat
.Lfunc_end59:
	.size	_ZN7rocprim17ROCPRIM_400000_NS6detail17trampoline_kernelINS0_14default_configENS1_20scan_config_selectorIjEEZZNS1_9scan_implILNS1_25lookback_scan_determinismE0ELb1ELb1ES3_PjS8_jN6hipcub16HIPCUB_304000_NS3SumEjEEDaPvRmT3_T4_T5_mT6_P12ihipStream_tbENKUlT_T0_E_clISt17integral_constantIbLb1EESO_IbLb0EEEEDaSK_SL_EUlSK_E0_NS1_11comp_targetILNS1_3genE4ELNS1_11target_archE910ELNS1_3gpuE8ELNS1_3repE0EEENS1_30default_config_static_selectorELNS0_4arch9wavefront6targetE0EEEvT1_, .Lfunc_end59-_ZN7rocprim17ROCPRIM_400000_NS6detail17trampoline_kernelINS0_14default_configENS1_20scan_config_selectorIjEEZZNS1_9scan_implILNS1_25lookback_scan_determinismE0ELb1ELb1ES3_PjS8_jN6hipcub16HIPCUB_304000_NS3SumEjEEDaPvRmT3_T4_T5_mT6_P12ihipStream_tbENKUlT_T0_E_clISt17integral_constantIbLb1EESO_IbLb0EEEEDaSK_SL_EUlSK_E0_NS1_11comp_targetILNS1_3genE4ELNS1_11target_archE910ELNS1_3gpuE8ELNS1_3repE0EEENS1_30default_config_static_selectorELNS0_4arch9wavefront6targetE0EEEvT1_
                                        ; -- End function
	.set _ZN7rocprim17ROCPRIM_400000_NS6detail17trampoline_kernelINS0_14default_configENS1_20scan_config_selectorIjEEZZNS1_9scan_implILNS1_25lookback_scan_determinismE0ELb1ELb1ES3_PjS8_jN6hipcub16HIPCUB_304000_NS3SumEjEEDaPvRmT3_T4_T5_mT6_P12ihipStream_tbENKUlT_T0_E_clISt17integral_constantIbLb1EESO_IbLb0EEEEDaSK_SL_EUlSK_E0_NS1_11comp_targetILNS1_3genE4ELNS1_11target_archE910ELNS1_3gpuE8ELNS1_3repE0EEENS1_30default_config_static_selectorELNS0_4arch9wavefront6targetE0EEEvT1_.num_vgpr, 0
	.set _ZN7rocprim17ROCPRIM_400000_NS6detail17trampoline_kernelINS0_14default_configENS1_20scan_config_selectorIjEEZZNS1_9scan_implILNS1_25lookback_scan_determinismE0ELb1ELb1ES3_PjS8_jN6hipcub16HIPCUB_304000_NS3SumEjEEDaPvRmT3_T4_T5_mT6_P12ihipStream_tbENKUlT_T0_E_clISt17integral_constantIbLb1EESO_IbLb0EEEEDaSK_SL_EUlSK_E0_NS1_11comp_targetILNS1_3genE4ELNS1_11target_archE910ELNS1_3gpuE8ELNS1_3repE0EEENS1_30default_config_static_selectorELNS0_4arch9wavefront6targetE0EEEvT1_.num_agpr, 0
	.set _ZN7rocprim17ROCPRIM_400000_NS6detail17trampoline_kernelINS0_14default_configENS1_20scan_config_selectorIjEEZZNS1_9scan_implILNS1_25lookback_scan_determinismE0ELb1ELb1ES3_PjS8_jN6hipcub16HIPCUB_304000_NS3SumEjEEDaPvRmT3_T4_T5_mT6_P12ihipStream_tbENKUlT_T0_E_clISt17integral_constantIbLb1EESO_IbLb0EEEEDaSK_SL_EUlSK_E0_NS1_11comp_targetILNS1_3genE4ELNS1_11target_archE910ELNS1_3gpuE8ELNS1_3repE0EEENS1_30default_config_static_selectorELNS0_4arch9wavefront6targetE0EEEvT1_.numbered_sgpr, 0
	.set _ZN7rocprim17ROCPRIM_400000_NS6detail17trampoline_kernelINS0_14default_configENS1_20scan_config_selectorIjEEZZNS1_9scan_implILNS1_25lookback_scan_determinismE0ELb1ELb1ES3_PjS8_jN6hipcub16HIPCUB_304000_NS3SumEjEEDaPvRmT3_T4_T5_mT6_P12ihipStream_tbENKUlT_T0_E_clISt17integral_constantIbLb1EESO_IbLb0EEEEDaSK_SL_EUlSK_E0_NS1_11comp_targetILNS1_3genE4ELNS1_11target_archE910ELNS1_3gpuE8ELNS1_3repE0EEENS1_30default_config_static_selectorELNS0_4arch9wavefront6targetE0EEEvT1_.num_named_barrier, 0
	.set _ZN7rocprim17ROCPRIM_400000_NS6detail17trampoline_kernelINS0_14default_configENS1_20scan_config_selectorIjEEZZNS1_9scan_implILNS1_25lookback_scan_determinismE0ELb1ELb1ES3_PjS8_jN6hipcub16HIPCUB_304000_NS3SumEjEEDaPvRmT3_T4_T5_mT6_P12ihipStream_tbENKUlT_T0_E_clISt17integral_constantIbLb1EESO_IbLb0EEEEDaSK_SL_EUlSK_E0_NS1_11comp_targetILNS1_3genE4ELNS1_11target_archE910ELNS1_3gpuE8ELNS1_3repE0EEENS1_30default_config_static_selectorELNS0_4arch9wavefront6targetE0EEEvT1_.private_seg_size, 0
	.set _ZN7rocprim17ROCPRIM_400000_NS6detail17trampoline_kernelINS0_14default_configENS1_20scan_config_selectorIjEEZZNS1_9scan_implILNS1_25lookback_scan_determinismE0ELb1ELb1ES3_PjS8_jN6hipcub16HIPCUB_304000_NS3SumEjEEDaPvRmT3_T4_T5_mT6_P12ihipStream_tbENKUlT_T0_E_clISt17integral_constantIbLb1EESO_IbLb0EEEEDaSK_SL_EUlSK_E0_NS1_11comp_targetILNS1_3genE4ELNS1_11target_archE910ELNS1_3gpuE8ELNS1_3repE0EEENS1_30default_config_static_selectorELNS0_4arch9wavefront6targetE0EEEvT1_.uses_vcc, 0
	.set _ZN7rocprim17ROCPRIM_400000_NS6detail17trampoline_kernelINS0_14default_configENS1_20scan_config_selectorIjEEZZNS1_9scan_implILNS1_25lookback_scan_determinismE0ELb1ELb1ES3_PjS8_jN6hipcub16HIPCUB_304000_NS3SumEjEEDaPvRmT3_T4_T5_mT6_P12ihipStream_tbENKUlT_T0_E_clISt17integral_constantIbLb1EESO_IbLb0EEEEDaSK_SL_EUlSK_E0_NS1_11comp_targetILNS1_3genE4ELNS1_11target_archE910ELNS1_3gpuE8ELNS1_3repE0EEENS1_30default_config_static_selectorELNS0_4arch9wavefront6targetE0EEEvT1_.uses_flat_scratch, 0
	.set _ZN7rocprim17ROCPRIM_400000_NS6detail17trampoline_kernelINS0_14default_configENS1_20scan_config_selectorIjEEZZNS1_9scan_implILNS1_25lookback_scan_determinismE0ELb1ELb1ES3_PjS8_jN6hipcub16HIPCUB_304000_NS3SumEjEEDaPvRmT3_T4_T5_mT6_P12ihipStream_tbENKUlT_T0_E_clISt17integral_constantIbLb1EESO_IbLb0EEEEDaSK_SL_EUlSK_E0_NS1_11comp_targetILNS1_3genE4ELNS1_11target_archE910ELNS1_3gpuE8ELNS1_3repE0EEENS1_30default_config_static_selectorELNS0_4arch9wavefront6targetE0EEEvT1_.has_dyn_sized_stack, 0
	.set _ZN7rocprim17ROCPRIM_400000_NS6detail17trampoline_kernelINS0_14default_configENS1_20scan_config_selectorIjEEZZNS1_9scan_implILNS1_25lookback_scan_determinismE0ELb1ELb1ES3_PjS8_jN6hipcub16HIPCUB_304000_NS3SumEjEEDaPvRmT3_T4_T5_mT6_P12ihipStream_tbENKUlT_T0_E_clISt17integral_constantIbLb1EESO_IbLb0EEEEDaSK_SL_EUlSK_E0_NS1_11comp_targetILNS1_3genE4ELNS1_11target_archE910ELNS1_3gpuE8ELNS1_3repE0EEENS1_30default_config_static_selectorELNS0_4arch9wavefront6targetE0EEEvT1_.has_recursion, 0
	.set _ZN7rocprim17ROCPRIM_400000_NS6detail17trampoline_kernelINS0_14default_configENS1_20scan_config_selectorIjEEZZNS1_9scan_implILNS1_25lookback_scan_determinismE0ELb1ELb1ES3_PjS8_jN6hipcub16HIPCUB_304000_NS3SumEjEEDaPvRmT3_T4_T5_mT6_P12ihipStream_tbENKUlT_T0_E_clISt17integral_constantIbLb1EESO_IbLb0EEEEDaSK_SL_EUlSK_E0_NS1_11comp_targetILNS1_3genE4ELNS1_11target_archE910ELNS1_3gpuE8ELNS1_3repE0EEENS1_30default_config_static_selectorELNS0_4arch9wavefront6targetE0EEEvT1_.has_indirect_call, 0
	.section	.AMDGPU.csdata,"",@progbits
; Kernel info:
; codeLenInByte = 0
; TotalNumSgprs: 0
; NumVgprs: 0
; ScratchSize: 0
; MemoryBound: 0
; FloatMode: 240
; IeeeMode: 1
; LDSByteSize: 0 bytes/workgroup (compile time only)
; SGPRBlocks: 0
; VGPRBlocks: 0
; NumSGPRsForWavesPerEU: 1
; NumVGPRsForWavesPerEU: 1
; NamedBarCnt: 0
; Occupancy: 16
; WaveLimiterHint : 0
; COMPUTE_PGM_RSRC2:SCRATCH_EN: 0
; COMPUTE_PGM_RSRC2:USER_SGPR: 2
; COMPUTE_PGM_RSRC2:TRAP_HANDLER: 0
; COMPUTE_PGM_RSRC2:TGID_X_EN: 1
; COMPUTE_PGM_RSRC2:TGID_Y_EN: 0
; COMPUTE_PGM_RSRC2:TGID_Z_EN: 0
; COMPUTE_PGM_RSRC2:TIDIG_COMP_CNT: 0
	.section	.text._ZN7rocprim17ROCPRIM_400000_NS6detail17trampoline_kernelINS0_14default_configENS1_20scan_config_selectorIjEEZZNS1_9scan_implILNS1_25lookback_scan_determinismE0ELb1ELb1ES3_PjS8_jN6hipcub16HIPCUB_304000_NS3SumEjEEDaPvRmT3_T4_T5_mT6_P12ihipStream_tbENKUlT_T0_E_clISt17integral_constantIbLb1EESO_IbLb0EEEEDaSK_SL_EUlSK_E0_NS1_11comp_targetILNS1_3genE3ELNS1_11target_archE908ELNS1_3gpuE7ELNS1_3repE0EEENS1_30default_config_static_selectorELNS0_4arch9wavefront6targetE0EEEvT1_,"axG",@progbits,_ZN7rocprim17ROCPRIM_400000_NS6detail17trampoline_kernelINS0_14default_configENS1_20scan_config_selectorIjEEZZNS1_9scan_implILNS1_25lookback_scan_determinismE0ELb1ELb1ES3_PjS8_jN6hipcub16HIPCUB_304000_NS3SumEjEEDaPvRmT3_T4_T5_mT6_P12ihipStream_tbENKUlT_T0_E_clISt17integral_constantIbLb1EESO_IbLb0EEEEDaSK_SL_EUlSK_E0_NS1_11comp_targetILNS1_3genE3ELNS1_11target_archE908ELNS1_3gpuE7ELNS1_3repE0EEENS1_30default_config_static_selectorELNS0_4arch9wavefront6targetE0EEEvT1_,comdat
	.protected	_ZN7rocprim17ROCPRIM_400000_NS6detail17trampoline_kernelINS0_14default_configENS1_20scan_config_selectorIjEEZZNS1_9scan_implILNS1_25lookback_scan_determinismE0ELb1ELb1ES3_PjS8_jN6hipcub16HIPCUB_304000_NS3SumEjEEDaPvRmT3_T4_T5_mT6_P12ihipStream_tbENKUlT_T0_E_clISt17integral_constantIbLb1EESO_IbLb0EEEEDaSK_SL_EUlSK_E0_NS1_11comp_targetILNS1_3genE3ELNS1_11target_archE908ELNS1_3gpuE7ELNS1_3repE0EEENS1_30default_config_static_selectorELNS0_4arch9wavefront6targetE0EEEvT1_ ; -- Begin function _ZN7rocprim17ROCPRIM_400000_NS6detail17trampoline_kernelINS0_14default_configENS1_20scan_config_selectorIjEEZZNS1_9scan_implILNS1_25lookback_scan_determinismE0ELb1ELb1ES3_PjS8_jN6hipcub16HIPCUB_304000_NS3SumEjEEDaPvRmT3_T4_T5_mT6_P12ihipStream_tbENKUlT_T0_E_clISt17integral_constantIbLb1EESO_IbLb0EEEEDaSK_SL_EUlSK_E0_NS1_11comp_targetILNS1_3genE3ELNS1_11target_archE908ELNS1_3gpuE7ELNS1_3repE0EEENS1_30default_config_static_selectorELNS0_4arch9wavefront6targetE0EEEvT1_
	.globl	_ZN7rocprim17ROCPRIM_400000_NS6detail17trampoline_kernelINS0_14default_configENS1_20scan_config_selectorIjEEZZNS1_9scan_implILNS1_25lookback_scan_determinismE0ELb1ELb1ES3_PjS8_jN6hipcub16HIPCUB_304000_NS3SumEjEEDaPvRmT3_T4_T5_mT6_P12ihipStream_tbENKUlT_T0_E_clISt17integral_constantIbLb1EESO_IbLb0EEEEDaSK_SL_EUlSK_E0_NS1_11comp_targetILNS1_3genE3ELNS1_11target_archE908ELNS1_3gpuE7ELNS1_3repE0EEENS1_30default_config_static_selectorELNS0_4arch9wavefront6targetE0EEEvT1_
	.p2align	8
	.type	_ZN7rocprim17ROCPRIM_400000_NS6detail17trampoline_kernelINS0_14default_configENS1_20scan_config_selectorIjEEZZNS1_9scan_implILNS1_25lookback_scan_determinismE0ELb1ELb1ES3_PjS8_jN6hipcub16HIPCUB_304000_NS3SumEjEEDaPvRmT3_T4_T5_mT6_P12ihipStream_tbENKUlT_T0_E_clISt17integral_constantIbLb1EESO_IbLb0EEEEDaSK_SL_EUlSK_E0_NS1_11comp_targetILNS1_3genE3ELNS1_11target_archE908ELNS1_3gpuE7ELNS1_3repE0EEENS1_30default_config_static_selectorELNS0_4arch9wavefront6targetE0EEEvT1_,@function
_ZN7rocprim17ROCPRIM_400000_NS6detail17trampoline_kernelINS0_14default_configENS1_20scan_config_selectorIjEEZZNS1_9scan_implILNS1_25lookback_scan_determinismE0ELb1ELb1ES3_PjS8_jN6hipcub16HIPCUB_304000_NS3SumEjEEDaPvRmT3_T4_T5_mT6_P12ihipStream_tbENKUlT_T0_E_clISt17integral_constantIbLb1EESO_IbLb0EEEEDaSK_SL_EUlSK_E0_NS1_11comp_targetILNS1_3genE3ELNS1_11target_archE908ELNS1_3gpuE7ELNS1_3repE0EEENS1_30default_config_static_selectorELNS0_4arch9wavefront6targetE0EEEvT1_: ; @_ZN7rocprim17ROCPRIM_400000_NS6detail17trampoline_kernelINS0_14default_configENS1_20scan_config_selectorIjEEZZNS1_9scan_implILNS1_25lookback_scan_determinismE0ELb1ELb1ES3_PjS8_jN6hipcub16HIPCUB_304000_NS3SumEjEEDaPvRmT3_T4_T5_mT6_P12ihipStream_tbENKUlT_T0_E_clISt17integral_constantIbLb1EESO_IbLb0EEEEDaSK_SL_EUlSK_E0_NS1_11comp_targetILNS1_3genE3ELNS1_11target_archE908ELNS1_3gpuE7ELNS1_3repE0EEENS1_30default_config_static_selectorELNS0_4arch9wavefront6targetE0EEEvT1_
; %bb.0:
	.section	.rodata,"a",@progbits
	.p2align	6, 0x0
	.amdhsa_kernel _ZN7rocprim17ROCPRIM_400000_NS6detail17trampoline_kernelINS0_14default_configENS1_20scan_config_selectorIjEEZZNS1_9scan_implILNS1_25lookback_scan_determinismE0ELb1ELb1ES3_PjS8_jN6hipcub16HIPCUB_304000_NS3SumEjEEDaPvRmT3_T4_T5_mT6_P12ihipStream_tbENKUlT_T0_E_clISt17integral_constantIbLb1EESO_IbLb0EEEEDaSK_SL_EUlSK_E0_NS1_11comp_targetILNS1_3genE3ELNS1_11target_archE908ELNS1_3gpuE7ELNS1_3repE0EEENS1_30default_config_static_selectorELNS0_4arch9wavefront6targetE0EEEvT1_
		.amdhsa_group_segment_fixed_size 0
		.amdhsa_private_segment_fixed_size 0
		.amdhsa_kernarg_size 32
		.amdhsa_user_sgpr_count 2
		.amdhsa_user_sgpr_dispatch_ptr 0
		.amdhsa_user_sgpr_queue_ptr 0
		.amdhsa_user_sgpr_kernarg_segment_ptr 1
		.amdhsa_user_sgpr_dispatch_id 0
		.amdhsa_user_sgpr_kernarg_preload_length 0
		.amdhsa_user_sgpr_kernarg_preload_offset 0
		.amdhsa_user_sgpr_private_segment_size 0
		.amdhsa_wavefront_size32 1
		.amdhsa_uses_dynamic_stack 0
		.amdhsa_enable_private_segment 0
		.amdhsa_system_sgpr_workgroup_id_x 1
		.amdhsa_system_sgpr_workgroup_id_y 0
		.amdhsa_system_sgpr_workgroup_id_z 0
		.amdhsa_system_sgpr_workgroup_info 0
		.amdhsa_system_vgpr_workitem_id 0
		.amdhsa_next_free_vgpr 1
		.amdhsa_next_free_sgpr 1
		.amdhsa_named_barrier_count 0
		.amdhsa_reserve_vcc 0
		.amdhsa_float_round_mode_32 0
		.amdhsa_float_round_mode_16_64 0
		.amdhsa_float_denorm_mode_32 3
		.amdhsa_float_denorm_mode_16_64 3
		.amdhsa_fp16_overflow 0
		.amdhsa_memory_ordered 1
		.amdhsa_forward_progress 1
		.amdhsa_inst_pref_size 0
		.amdhsa_round_robin_scheduling 0
		.amdhsa_exception_fp_ieee_invalid_op 0
		.amdhsa_exception_fp_denorm_src 0
		.amdhsa_exception_fp_ieee_div_zero 0
		.amdhsa_exception_fp_ieee_overflow 0
		.amdhsa_exception_fp_ieee_underflow 0
		.amdhsa_exception_fp_ieee_inexact 0
		.amdhsa_exception_int_div_zero 0
	.end_amdhsa_kernel
	.section	.text._ZN7rocprim17ROCPRIM_400000_NS6detail17trampoline_kernelINS0_14default_configENS1_20scan_config_selectorIjEEZZNS1_9scan_implILNS1_25lookback_scan_determinismE0ELb1ELb1ES3_PjS8_jN6hipcub16HIPCUB_304000_NS3SumEjEEDaPvRmT3_T4_T5_mT6_P12ihipStream_tbENKUlT_T0_E_clISt17integral_constantIbLb1EESO_IbLb0EEEEDaSK_SL_EUlSK_E0_NS1_11comp_targetILNS1_3genE3ELNS1_11target_archE908ELNS1_3gpuE7ELNS1_3repE0EEENS1_30default_config_static_selectorELNS0_4arch9wavefront6targetE0EEEvT1_,"axG",@progbits,_ZN7rocprim17ROCPRIM_400000_NS6detail17trampoline_kernelINS0_14default_configENS1_20scan_config_selectorIjEEZZNS1_9scan_implILNS1_25lookback_scan_determinismE0ELb1ELb1ES3_PjS8_jN6hipcub16HIPCUB_304000_NS3SumEjEEDaPvRmT3_T4_T5_mT6_P12ihipStream_tbENKUlT_T0_E_clISt17integral_constantIbLb1EESO_IbLb0EEEEDaSK_SL_EUlSK_E0_NS1_11comp_targetILNS1_3genE3ELNS1_11target_archE908ELNS1_3gpuE7ELNS1_3repE0EEENS1_30default_config_static_selectorELNS0_4arch9wavefront6targetE0EEEvT1_,comdat
.Lfunc_end60:
	.size	_ZN7rocprim17ROCPRIM_400000_NS6detail17trampoline_kernelINS0_14default_configENS1_20scan_config_selectorIjEEZZNS1_9scan_implILNS1_25lookback_scan_determinismE0ELb1ELb1ES3_PjS8_jN6hipcub16HIPCUB_304000_NS3SumEjEEDaPvRmT3_T4_T5_mT6_P12ihipStream_tbENKUlT_T0_E_clISt17integral_constantIbLb1EESO_IbLb0EEEEDaSK_SL_EUlSK_E0_NS1_11comp_targetILNS1_3genE3ELNS1_11target_archE908ELNS1_3gpuE7ELNS1_3repE0EEENS1_30default_config_static_selectorELNS0_4arch9wavefront6targetE0EEEvT1_, .Lfunc_end60-_ZN7rocprim17ROCPRIM_400000_NS6detail17trampoline_kernelINS0_14default_configENS1_20scan_config_selectorIjEEZZNS1_9scan_implILNS1_25lookback_scan_determinismE0ELb1ELb1ES3_PjS8_jN6hipcub16HIPCUB_304000_NS3SumEjEEDaPvRmT3_T4_T5_mT6_P12ihipStream_tbENKUlT_T0_E_clISt17integral_constantIbLb1EESO_IbLb0EEEEDaSK_SL_EUlSK_E0_NS1_11comp_targetILNS1_3genE3ELNS1_11target_archE908ELNS1_3gpuE7ELNS1_3repE0EEENS1_30default_config_static_selectorELNS0_4arch9wavefront6targetE0EEEvT1_
                                        ; -- End function
	.set _ZN7rocprim17ROCPRIM_400000_NS6detail17trampoline_kernelINS0_14default_configENS1_20scan_config_selectorIjEEZZNS1_9scan_implILNS1_25lookback_scan_determinismE0ELb1ELb1ES3_PjS8_jN6hipcub16HIPCUB_304000_NS3SumEjEEDaPvRmT3_T4_T5_mT6_P12ihipStream_tbENKUlT_T0_E_clISt17integral_constantIbLb1EESO_IbLb0EEEEDaSK_SL_EUlSK_E0_NS1_11comp_targetILNS1_3genE3ELNS1_11target_archE908ELNS1_3gpuE7ELNS1_3repE0EEENS1_30default_config_static_selectorELNS0_4arch9wavefront6targetE0EEEvT1_.num_vgpr, 0
	.set _ZN7rocprim17ROCPRIM_400000_NS6detail17trampoline_kernelINS0_14default_configENS1_20scan_config_selectorIjEEZZNS1_9scan_implILNS1_25lookback_scan_determinismE0ELb1ELb1ES3_PjS8_jN6hipcub16HIPCUB_304000_NS3SumEjEEDaPvRmT3_T4_T5_mT6_P12ihipStream_tbENKUlT_T0_E_clISt17integral_constantIbLb1EESO_IbLb0EEEEDaSK_SL_EUlSK_E0_NS1_11comp_targetILNS1_3genE3ELNS1_11target_archE908ELNS1_3gpuE7ELNS1_3repE0EEENS1_30default_config_static_selectorELNS0_4arch9wavefront6targetE0EEEvT1_.num_agpr, 0
	.set _ZN7rocprim17ROCPRIM_400000_NS6detail17trampoline_kernelINS0_14default_configENS1_20scan_config_selectorIjEEZZNS1_9scan_implILNS1_25lookback_scan_determinismE0ELb1ELb1ES3_PjS8_jN6hipcub16HIPCUB_304000_NS3SumEjEEDaPvRmT3_T4_T5_mT6_P12ihipStream_tbENKUlT_T0_E_clISt17integral_constantIbLb1EESO_IbLb0EEEEDaSK_SL_EUlSK_E0_NS1_11comp_targetILNS1_3genE3ELNS1_11target_archE908ELNS1_3gpuE7ELNS1_3repE0EEENS1_30default_config_static_selectorELNS0_4arch9wavefront6targetE0EEEvT1_.numbered_sgpr, 0
	.set _ZN7rocprim17ROCPRIM_400000_NS6detail17trampoline_kernelINS0_14default_configENS1_20scan_config_selectorIjEEZZNS1_9scan_implILNS1_25lookback_scan_determinismE0ELb1ELb1ES3_PjS8_jN6hipcub16HIPCUB_304000_NS3SumEjEEDaPvRmT3_T4_T5_mT6_P12ihipStream_tbENKUlT_T0_E_clISt17integral_constantIbLb1EESO_IbLb0EEEEDaSK_SL_EUlSK_E0_NS1_11comp_targetILNS1_3genE3ELNS1_11target_archE908ELNS1_3gpuE7ELNS1_3repE0EEENS1_30default_config_static_selectorELNS0_4arch9wavefront6targetE0EEEvT1_.num_named_barrier, 0
	.set _ZN7rocprim17ROCPRIM_400000_NS6detail17trampoline_kernelINS0_14default_configENS1_20scan_config_selectorIjEEZZNS1_9scan_implILNS1_25lookback_scan_determinismE0ELb1ELb1ES3_PjS8_jN6hipcub16HIPCUB_304000_NS3SumEjEEDaPvRmT3_T4_T5_mT6_P12ihipStream_tbENKUlT_T0_E_clISt17integral_constantIbLb1EESO_IbLb0EEEEDaSK_SL_EUlSK_E0_NS1_11comp_targetILNS1_3genE3ELNS1_11target_archE908ELNS1_3gpuE7ELNS1_3repE0EEENS1_30default_config_static_selectorELNS0_4arch9wavefront6targetE0EEEvT1_.private_seg_size, 0
	.set _ZN7rocprim17ROCPRIM_400000_NS6detail17trampoline_kernelINS0_14default_configENS1_20scan_config_selectorIjEEZZNS1_9scan_implILNS1_25lookback_scan_determinismE0ELb1ELb1ES3_PjS8_jN6hipcub16HIPCUB_304000_NS3SumEjEEDaPvRmT3_T4_T5_mT6_P12ihipStream_tbENKUlT_T0_E_clISt17integral_constantIbLb1EESO_IbLb0EEEEDaSK_SL_EUlSK_E0_NS1_11comp_targetILNS1_3genE3ELNS1_11target_archE908ELNS1_3gpuE7ELNS1_3repE0EEENS1_30default_config_static_selectorELNS0_4arch9wavefront6targetE0EEEvT1_.uses_vcc, 0
	.set _ZN7rocprim17ROCPRIM_400000_NS6detail17trampoline_kernelINS0_14default_configENS1_20scan_config_selectorIjEEZZNS1_9scan_implILNS1_25lookback_scan_determinismE0ELb1ELb1ES3_PjS8_jN6hipcub16HIPCUB_304000_NS3SumEjEEDaPvRmT3_T4_T5_mT6_P12ihipStream_tbENKUlT_T0_E_clISt17integral_constantIbLb1EESO_IbLb0EEEEDaSK_SL_EUlSK_E0_NS1_11comp_targetILNS1_3genE3ELNS1_11target_archE908ELNS1_3gpuE7ELNS1_3repE0EEENS1_30default_config_static_selectorELNS0_4arch9wavefront6targetE0EEEvT1_.uses_flat_scratch, 0
	.set _ZN7rocprim17ROCPRIM_400000_NS6detail17trampoline_kernelINS0_14default_configENS1_20scan_config_selectorIjEEZZNS1_9scan_implILNS1_25lookback_scan_determinismE0ELb1ELb1ES3_PjS8_jN6hipcub16HIPCUB_304000_NS3SumEjEEDaPvRmT3_T4_T5_mT6_P12ihipStream_tbENKUlT_T0_E_clISt17integral_constantIbLb1EESO_IbLb0EEEEDaSK_SL_EUlSK_E0_NS1_11comp_targetILNS1_3genE3ELNS1_11target_archE908ELNS1_3gpuE7ELNS1_3repE0EEENS1_30default_config_static_selectorELNS0_4arch9wavefront6targetE0EEEvT1_.has_dyn_sized_stack, 0
	.set _ZN7rocprim17ROCPRIM_400000_NS6detail17trampoline_kernelINS0_14default_configENS1_20scan_config_selectorIjEEZZNS1_9scan_implILNS1_25lookback_scan_determinismE0ELb1ELb1ES3_PjS8_jN6hipcub16HIPCUB_304000_NS3SumEjEEDaPvRmT3_T4_T5_mT6_P12ihipStream_tbENKUlT_T0_E_clISt17integral_constantIbLb1EESO_IbLb0EEEEDaSK_SL_EUlSK_E0_NS1_11comp_targetILNS1_3genE3ELNS1_11target_archE908ELNS1_3gpuE7ELNS1_3repE0EEENS1_30default_config_static_selectorELNS0_4arch9wavefront6targetE0EEEvT1_.has_recursion, 0
	.set _ZN7rocprim17ROCPRIM_400000_NS6detail17trampoline_kernelINS0_14default_configENS1_20scan_config_selectorIjEEZZNS1_9scan_implILNS1_25lookback_scan_determinismE0ELb1ELb1ES3_PjS8_jN6hipcub16HIPCUB_304000_NS3SumEjEEDaPvRmT3_T4_T5_mT6_P12ihipStream_tbENKUlT_T0_E_clISt17integral_constantIbLb1EESO_IbLb0EEEEDaSK_SL_EUlSK_E0_NS1_11comp_targetILNS1_3genE3ELNS1_11target_archE908ELNS1_3gpuE7ELNS1_3repE0EEENS1_30default_config_static_selectorELNS0_4arch9wavefront6targetE0EEEvT1_.has_indirect_call, 0
	.section	.AMDGPU.csdata,"",@progbits
; Kernel info:
; codeLenInByte = 0
; TotalNumSgprs: 0
; NumVgprs: 0
; ScratchSize: 0
; MemoryBound: 0
; FloatMode: 240
; IeeeMode: 1
; LDSByteSize: 0 bytes/workgroup (compile time only)
; SGPRBlocks: 0
; VGPRBlocks: 0
; NumSGPRsForWavesPerEU: 1
; NumVGPRsForWavesPerEU: 1
; NamedBarCnt: 0
; Occupancy: 16
; WaveLimiterHint : 0
; COMPUTE_PGM_RSRC2:SCRATCH_EN: 0
; COMPUTE_PGM_RSRC2:USER_SGPR: 2
; COMPUTE_PGM_RSRC2:TRAP_HANDLER: 0
; COMPUTE_PGM_RSRC2:TGID_X_EN: 1
; COMPUTE_PGM_RSRC2:TGID_Y_EN: 0
; COMPUTE_PGM_RSRC2:TGID_Z_EN: 0
; COMPUTE_PGM_RSRC2:TIDIG_COMP_CNT: 0
	.section	.text._ZN7rocprim17ROCPRIM_400000_NS6detail17trampoline_kernelINS0_14default_configENS1_20scan_config_selectorIjEEZZNS1_9scan_implILNS1_25lookback_scan_determinismE0ELb1ELb1ES3_PjS8_jN6hipcub16HIPCUB_304000_NS3SumEjEEDaPvRmT3_T4_T5_mT6_P12ihipStream_tbENKUlT_T0_E_clISt17integral_constantIbLb1EESO_IbLb0EEEEDaSK_SL_EUlSK_E0_NS1_11comp_targetILNS1_3genE2ELNS1_11target_archE906ELNS1_3gpuE6ELNS1_3repE0EEENS1_30default_config_static_selectorELNS0_4arch9wavefront6targetE0EEEvT1_,"axG",@progbits,_ZN7rocprim17ROCPRIM_400000_NS6detail17trampoline_kernelINS0_14default_configENS1_20scan_config_selectorIjEEZZNS1_9scan_implILNS1_25lookback_scan_determinismE0ELb1ELb1ES3_PjS8_jN6hipcub16HIPCUB_304000_NS3SumEjEEDaPvRmT3_T4_T5_mT6_P12ihipStream_tbENKUlT_T0_E_clISt17integral_constantIbLb1EESO_IbLb0EEEEDaSK_SL_EUlSK_E0_NS1_11comp_targetILNS1_3genE2ELNS1_11target_archE906ELNS1_3gpuE6ELNS1_3repE0EEENS1_30default_config_static_selectorELNS0_4arch9wavefront6targetE0EEEvT1_,comdat
	.protected	_ZN7rocprim17ROCPRIM_400000_NS6detail17trampoline_kernelINS0_14default_configENS1_20scan_config_selectorIjEEZZNS1_9scan_implILNS1_25lookback_scan_determinismE0ELb1ELb1ES3_PjS8_jN6hipcub16HIPCUB_304000_NS3SumEjEEDaPvRmT3_T4_T5_mT6_P12ihipStream_tbENKUlT_T0_E_clISt17integral_constantIbLb1EESO_IbLb0EEEEDaSK_SL_EUlSK_E0_NS1_11comp_targetILNS1_3genE2ELNS1_11target_archE906ELNS1_3gpuE6ELNS1_3repE0EEENS1_30default_config_static_selectorELNS0_4arch9wavefront6targetE0EEEvT1_ ; -- Begin function _ZN7rocprim17ROCPRIM_400000_NS6detail17trampoline_kernelINS0_14default_configENS1_20scan_config_selectorIjEEZZNS1_9scan_implILNS1_25lookback_scan_determinismE0ELb1ELb1ES3_PjS8_jN6hipcub16HIPCUB_304000_NS3SumEjEEDaPvRmT3_T4_T5_mT6_P12ihipStream_tbENKUlT_T0_E_clISt17integral_constantIbLb1EESO_IbLb0EEEEDaSK_SL_EUlSK_E0_NS1_11comp_targetILNS1_3genE2ELNS1_11target_archE906ELNS1_3gpuE6ELNS1_3repE0EEENS1_30default_config_static_selectorELNS0_4arch9wavefront6targetE0EEEvT1_
	.globl	_ZN7rocprim17ROCPRIM_400000_NS6detail17trampoline_kernelINS0_14default_configENS1_20scan_config_selectorIjEEZZNS1_9scan_implILNS1_25lookback_scan_determinismE0ELb1ELb1ES3_PjS8_jN6hipcub16HIPCUB_304000_NS3SumEjEEDaPvRmT3_T4_T5_mT6_P12ihipStream_tbENKUlT_T0_E_clISt17integral_constantIbLb1EESO_IbLb0EEEEDaSK_SL_EUlSK_E0_NS1_11comp_targetILNS1_3genE2ELNS1_11target_archE906ELNS1_3gpuE6ELNS1_3repE0EEENS1_30default_config_static_selectorELNS0_4arch9wavefront6targetE0EEEvT1_
	.p2align	8
	.type	_ZN7rocprim17ROCPRIM_400000_NS6detail17trampoline_kernelINS0_14default_configENS1_20scan_config_selectorIjEEZZNS1_9scan_implILNS1_25lookback_scan_determinismE0ELb1ELb1ES3_PjS8_jN6hipcub16HIPCUB_304000_NS3SumEjEEDaPvRmT3_T4_T5_mT6_P12ihipStream_tbENKUlT_T0_E_clISt17integral_constantIbLb1EESO_IbLb0EEEEDaSK_SL_EUlSK_E0_NS1_11comp_targetILNS1_3genE2ELNS1_11target_archE906ELNS1_3gpuE6ELNS1_3repE0EEENS1_30default_config_static_selectorELNS0_4arch9wavefront6targetE0EEEvT1_,@function
_ZN7rocprim17ROCPRIM_400000_NS6detail17trampoline_kernelINS0_14default_configENS1_20scan_config_selectorIjEEZZNS1_9scan_implILNS1_25lookback_scan_determinismE0ELb1ELb1ES3_PjS8_jN6hipcub16HIPCUB_304000_NS3SumEjEEDaPvRmT3_T4_T5_mT6_P12ihipStream_tbENKUlT_T0_E_clISt17integral_constantIbLb1EESO_IbLb0EEEEDaSK_SL_EUlSK_E0_NS1_11comp_targetILNS1_3genE2ELNS1_11target_archE906ELNS1_3gpuE6ELNS1_3repE0EEENS1_30default_config_static_selectorELNS0_4arch9wavefront6targetE0EEEvT1_: ; @_ZN7rocprim17ROCPRIM_400000_NS6detail17trampoline_kernelINS0_14default_configENS1_20scan_config_selectorIjEEZZNS1_9scan_implILNS1_25lookback_scan_determinismE0ELb1ELb1ES3_PjS8_jN6hipcub16HIPCUB_304000_NS3SumEjEEDaPvRmT3_T4_T5_mT6_P12ihipStream_tbENKUlT_T0_E_clISt17integral_constantIbLb1EESO_IbLb0EEEEDaSK_SL_EUlSK_E0_NS1_11comp_targetILNS1_3genE2ELNS1_11target_archE906ELNS1_3gpuE6ELNS1_3repE0EEENS1_30default_config_static_selectorELNS0_4arch9wavefront6targetE0EEEvT1_
; %bb.0:
	.section	.rodata,"a",@progbits
	.p2align	6, 0x0
	.amdhsa_kernel _ZN7rocprim17ROCPRIM_400000_NS6detail17trampoline_kernelINS0_14default_configENS1_20scan_config_selectorIjEEZZNS1_9scan_implILNS1_25lookback_scan_determinismE0ELb1ELb1ES3_PjS8_jN6hipcub16HIPCUB_304000_NS3SumEjEEDaPvRmT3_T4_T5_mT6_P12ihipStream_tbENKUlT_T0_E_clISt17integral_constantIbLb1EESO_IbLb0EEEEDaSK_SL_EUlSK_E0_NS1_11comp_targetILNS1_3genE2ELNS1_11target_archE906ELNS1_3gpuE6ELNS1_3repE0EEENS1_30default_config_static_selectorELNS0_4arch9wavefront6targetE0EEEvT1_
		.amdhsa_group_segment_fixed_size 0
		.amdhsa_private_segment_fixed_size 0
		.amdhsa_kernarg_size 32
		.amdhsa_user_sgpr_count 2
		.amdhsa_user_sgpr_dispatch_ptr 0
		.amdhsa_user_sgpr_queue_ptr 0
		.amdhsa_user_sgpr_kernarg_segment_ptr 1
		.amdhsa_user_sgpr_dispatch_id 0
		.amdhsa_user_sgpr_kernarg_preload_length 0
		.amdhsa_user_sgpr_kernarg_preload_offset 0
		.amdhsa_user_sgpr_private_segment_size 0
		.amdhsa_wavefront_size32 1
		.amdhsa_uses_dynamic_stack 0
		.amdhsa_enable_private_segment 0
		.amdhsa_system_sgpr_workgroup_id_x 1
		.amdhsa_system_sgpr_workgroup_id_y 0
		.amdhsa_system_sgpr_workgroup_id_z 0
		.amdhsa_system_sgpr_workgroup_info 0
		.amdhsa_system_vgpr_workitem_id 0
		.amdhsa_next_free_vgpr 1
		.amdhsa_next_free_sgpr 1
		.amdhsa_named_barrier_count 0
		.amdhsa_reserve_vcc 0
		.amdhsa_float_round_mode_32 0
		.amdhsa_float_round_mode_16_64 0
		.amdhsa_float_denorm_mode_32 3
		.amdhsa_float_denorm_mode_16_64 3
		.amdhsa_fp16_overflow 0
		.amdhsa_memory_ordered 1
		.amdhsa_forward_progress 1
		.amdhsa_inst_pref_size 0
		.amdhsa_round_robin_scheduling 0
		.amdhsa_exception_fp_ieee_invalid_op 0
		.amdhsa_exception_fp_denorm_src 0
		.amdhsa_exception_fp_ieee_div_zero 0
		.amdhsa_exception_fp_ieee_overflow 0
		.amdhsa_exception_fp_ieee_underflow 0
		.amdhsa_exception_fp_ieee_inexact 0
		.amdhsa_exception_int_div_zero 0
	.end_amdhsa_kernel
	.section	.text._ZN7rocprim17ROCPRIM_400000_NS6detail17trampoline_kernelINS0_14default_configENS1_20scan_config_selectorIjEEZZNS1_9scan_implILNS1_25lookback_scan_determinismE0ELb1ELb1ES3_PjS8_jN6hipcub16HIPCUB_304000_NS3SumEjEEDaPvRmT3_T4_T5_mT6_P12ihipStream_tbENKUlT_T0_E_clISt17integral_constantIbLb1EESO_IbLb0EEEEDaSK_SL_EUlSK_E0_NS1_11comp_targetILNS1_3genE2ELNS1_11target_archE906ELNS1_3gpuE6ELNS1_3repE0EEENS1_30default_config_static_selectorELNS0_4arch9wavefront6targetE0EEEvT1_,"axG",@progbits,_ZN7rocprim17ROCPRIM_400000_NS6detail17trampoline_kernelINS0_14default_configENS1_20scan_config_selectorIjEEZZNS1_9scan_implILNS1_25lookback_scan_determinismE0ELb1ELb1ES3_PjS8_jN6hipcub16HIPCUB_304000_NS3SumEjEEDaPvRmT3_T4_T5_mT6_P12ihipStream_tbENKUlT_T0_E_clISt17integral_constantIbLb1EESO_IbLb0EEEEDaSK_SL_EUlSK_E0_NS1_11comp_targetILNS1_3genE2ELNS1_11target_archE906ELNS1_3gpuE6ELNS1_3repE0EEENS1_30default_config_static_selectorELNS0_4arch9wavefront6targetE0EEEvT1_,comdat
.Lfunc_end61:
	.size	_ZN7rocprim17ROCPRIM_400000_NS6detail17trampoline_kernelINS0_14default_configENS1_20scan_config_selectorIjEEZZNS1_9scan_implILNS1_25lookback_scan_determinismE0ELb1ELb1ES3_PjS8_jN6hipcub16HIPCUB_304000_NS3SumEjEEDaPvRmT3_T4_T5_mT6_P12ihipStream_tbENKUlT_T0_E_clISt17integral_constantIbLb1EESO_IbLb0EEEEDaSK_SL_EUlSK_E0_NS1_11comp_targetILNS1_3genE2ELNS1_11target_archE906ELNS1_3gpuE6ELNS1_3repE0EEENS1_30default_config_static_selectorELNS0_4arch9wavefront6targetE0EEEvT1_, .Lfunc_end61-_ZN7rocprim17ROCPRIM_400000_NS6detail17trampoline_kernelINS0_14default_configENS1_20scan_config_selectorIjEEZZNS1_9scan_implILNS1_25lookback_scan_determinismE0ELb1ELb1ES3_PjS8_jN6hipcub16HIPCUB_304000_NS3SumEjEEDaPvRmT3_T4_T5_mT6_P12ihipStream_tbENKUlT_T0_E_clISt17integral_constantIbLb1EESO_IbLb0EEEEDaSK_SL_EUlSK_E0_NS1_11comp_targetILNS1_3genE2ELNS1_11target_archE906ELNS1_3gpuE6ELNS1_3repE0EEENS1_30default_config_static_selectorELNS0_4arch9wavefront6targetE0EEEvT1_
                                        ; -- End function
	.set _ZN7rocprim17ROCPRIM_400000_NS6detail17trampoline_kernelINS0_14default_configENS1_20scan_config_selectorIjEEZZNS1_9scan_implILNS1_25lookback_scan_determinismE0ELb1ELb1ES3_PjS8_jN6hipcub16HIPCUB_304000_NS3SumEjEEDaPvRmT3_T4_T5_mT6_P12ihipStream_tbENKUlT_T0_E_clISt17integral_constantIbLb1EESO_IbLb0EEEEDaSK_SL_EUlSK_E0_NS1_11comp_targetILNS1_3genE2ELNS1_11target_archE906ELNS1_3gpuE6ELNS1_3repE0EEENS1_30default_config_static_selectorELNS0_4arch9wavefront6targetE0EEEvT1_.num_vgpr, 0
	.set _ZN7rocprim17ROCPRIM_400000_NS6detail17trampoline_kernelINS0_14default_configENS1_20scan_config_selectorIjEEZZNS1_9scan_implILNS1_25lookback_scan_determinismE0ELb1ELb1ES3_PjS8_jN6hipcub16HIPCUB_304000_NS3SumEjEEDaPvRmT3_T4_T5_mT6_P12ihipStream_tbENKUlT_T0_E_clISt17integral_constantIbLb1EESO_IbLb0EEEEDaSK_SL_EUlSK_E0_NS1_11comp_targetILNS1_3genE2ELNS1_11target_archE906ELNS1_3gpuE6ELNS1_3repE0EEENS1_30default_config_static_selectorELNS0_4arch9wavefront6targetE0EEEvT1_.num_agpr, 0
	.set _ZN7rocprim17ROCPRIM_400000_NS6detail17trampoline_kernelINS0_14default_configENS1_20scan_config_selectorIjEEZZNS1_9scan_implILNS1_25lookback_scan_determinismE0ELb1ELb1ES3_PjS8_jN6hipcub16HIPCUB_304000_NS3SumEjEEDaPvRmT3_T4_T5_mT6_P12ihipStream_tbENKUlT_T0_E_clISt17integral_constantIbLb1EESO_IbLb0EEEEDaSK_SL_EUlSK_E0_NS1_11comp_targetILNS1_3genE2ELNS1_11target_archE906ELNS1_3gpuE6ELNS1_3repE0EEENS1_30default_config_static_selectorELNS0_4arch9wavefront6targetE0EEEvT1_.numbered_sgpr, 0
	.set _ZN7rocprim17ROCPRIM_400000_NS6detail17trampoline_kernelINS0_14default_configENS1_20scan_config_selectorIjEEZZNS1_9scan_implILNS1_25lookback_scan_determinismE0ELb1ELb1ES3_PjS8_jN6hipcub16HIPCUB_304000_NS3SumEjEEDaPvRmT3_T4_T5_mT6_P12ihipStream_tbENKUlT_T0_E_clISt17integral_constantIbLb1EESO_IbLb0EEEEDaSK_SL_EUlSK_E0_NS1_11comp_targetILNS1_3genE2ELNS1_11target_archE906ELNS1_3gpuE6ELNS1_3repE0EEENS1_30default_config_static_selectorELNS0_4arch9wavefront6targetE0EEEvT1_.num_named_barrier, 0
	.set _ZN7rocprim17ROCPRIM_400000_NS6detail17trampoline_kernelINS0_14default_configENS1_20scan_config_selectorIjEEZZNS1_9scan_implILNS1_25lookback_scan_determinismE0ELb1ELb1ES3_PjS8_jN6hipcub16HIPCUB_304000_NS3SumEjEEDaPvRmT3_T4_T5_mT6_P12ihipStream_tbENKUlT_T0_E_clISt17integral_constantIbLb1EESO_IbLb0EEEEDaSK_SL_EUlSK_E0_NS1_11comp_targetILNS1_3genE2ELNS1_11target_archE906ELNS1_3gpuE6ELNS1_3repE0EEENS1_30default_config_static_selectorELNS0_4arch9wavefront6targetE0EEEvT1_.private_seg_size, 0
	.set _ZN7rocprim17ROCPRIM_400000_NS6detail17trampoline_kernelINS0_14default_configENS1_20scan_config_selectorIjEEZZNS1_9scan_implILNS1_25lookback_scan_determinismE0ELb1ELb1ES3_PjS8_jN6hipcub16HIPCUB_304000_NS3SumEjEEDaPvRmT3_T4_T5_mT6_P12ihipStream_tbENKUlT_T0_E_clISt17integral_constantIbLb1EESO_IbLb0EEEEDaSK_SL_EUlSK_E0_NS1_11comp_targetILNS1_3genE2ELNS1_11target_archE906ELNS1_3gpuE6ELNS1_3repE0EEENS1_30default_config_static_selectorELNS0_4arch9wavefront6targetE0EEEvT1_.uses_vcc, 0
	.set _ZN7rocprim17ROCPRIM_400000_NS6detail17trampoline_kernelINS0_14default_configENS1_20scan_config_selectorIjEEZZNS1_9scan_implILNS1_25lookback_scan_determinismE0ELb1ELb1ES3_PjS8_jN6hipcub16HIPCUB_304000_NS3SumEjEEDaPvRmT3_T4_T5_mT6_P12ihipStream_tbENKUlT_T0_E_clISt17integral_constantIbLb1EESO_IbLb0EEEEDaSK_SL_EUlSK_E0_NS1_11comp_targetILNS1_3genE2ELNS1_11target_archE906ELNS1_3gpuE6ELNS1_3repE0EEENS1_30default_config_static_selectorELNS0_4arch9wavefront6targetE0EEEvT1_.uses_flat_scratch, 0
	.set _ZN7rocprim17ROCPRIM_400000_NS6detail17trampoline_kernelINS0_14default_configENS1_20scan_config_selectorIjEEZZNS1_9scan_implILNS1_25lookback_scan_determinismE0ELb1ELb1ES3_PjS8_jN6hipcub16HIPCUB_304000_NS3SumEjEEDaPvRmT3_T4_T5_mT6_P12ihipStream_tbENKUlT_T0_E_clISt17integral_constantIbLb1EESO_IbLb0EEEEDaSK_SL_EUlSK_E0_NS1_11comp_targetILNS1_3genE2ELNS1_11target_archE906ELNS1_3gpuE6ELNS1_3repE0EEENS1_30default_config_static_selectorELNS0_4arch9wavefront6targetE0EEEvT1_.has_dyn_sized_stack, 0
	.set _ZN7rocprim17ROCPRIM_400000_NS6detail17trampoline_kernelINS0_14default_configENS1_20scan_config_selectorIjEEZZNS1_9scan_implILNS1_25lookback_scan_determinismE0ELb1ELb1ES3_PjS8_jN6hipcub16HIPCUB_304000_NS3SumEjEEDaPvRmT3_T4_T5_mT6_P12ihipStream_tbENKUlT_T0_E_clISt17integral_constantIbLb1EESO_IbLb0EEEEDaSK_SL_EUlSK_E0_NS1_11comp_targetILNS1_3genE2ELNS1_11target_archE906ELNS1_3gpuE6ELNS1_3repE0EEENS1_30default_config_static_selectorELNS0_4arch9wavefront6targetE0EEEvT1_.has_recursion, 0
	.set _ZN7rocprim17ROCPRIM_400000_NS6detail17trampoline_kernelINS0_14default_configENS1_20scan_config_selectorIjEEZZNS1_9scan_implILNS1_25lookback_scan_determinismE0ELb1ELb1ES3_PjS8_jN6hipcub16HIPCUB_304000_NS3SumEjEEDaPvRmT3_T4_T5_mT6_P12ihipStream_tbENKUlT_T0_E_clISt17integral_constantIbLb1EESO_IbLb0EEEEDaSK_SL_EUlSK_E0_NS1_11comp_targetILNS1_3genE2ELNS1_11target_archE906ELNS1_3gpuE6ELNS1_3repE0EEENS1_30default_config_static_selectorELNS0_4arch9wavefront6targetE0EEEvT1_.has_indirect_call, 0
	.section	.AMDGPU.csdata,"",@progbits
; Kernel info:
; codeLenInByte = 0
; TotalNumSgprs: 0
; NumVgprs: 0
; ScratchSize: 0
; MemoryBound: 0
; FloatMode: 240
; IeeeMode: 1
; LDSByteSize: 0 bytes/workgroup (compile time only)
; SGPRBlocks: 0
; VGPRBlocks: 0
; NumSGPRsForWavesPerEU: 1
; NumVGPRsForWavesPerEU: 1
; NamedBarCnt: 0
; Occupancy: 16
; WaveLimiterHint : 0
; COMPUTE_PGM_RSRC2:SCRATCH_EN: 0
; COMPUTE_PGM_RSRC2:USER_SGPR: 2
; COMPUTE_PGM_RSRC2:TRAP_HANDLER: 0
; COMPUTE_PGM_RSRC2:TGID_X_EN: 1
; COMPUTE_PGM_RSRC2:TGID_Y_EN: 0
; COMPUTE_PGM_RSRC2:TGID_Z_EN: 0
; COMPUTE_PGM_RSRC2:TIDIG_COMP_CNT: 0
	.section	.text._ZN7rocprim17ROCPRIM_400000_NS6detail17trampoline_kernelINS0_14default_configENS1_20scan_config_selectorIjEEZZNS1_9scan_implILNS1_25lookback_scan_determinismE0ELb1ELb1ES3_PjS8_jN6hipcub16HIPCUB_304000_NS3SumEjEEDaPvRmT3_T4_T5_mT6_P12ihipStream_tbENKUlT_T0_E_clISt17integral_constantIbLb1EESO_IbLb0EEEEDaSK_SL_EUlSK_E0_NS1_11comp_targetILNS1_3genE10ELNS1_11target_archE1201ELNS1_3gpuE5ELNS1_3repE0EEENS1_30default_config_static_selectorELNS0_4arch9wavefront6targetE0EEEvT1_,"axG",@progbits,_ZN7rocprim17ROCPRIM_400000_NS6detail17trampoline_kernelINS0_14default_configENS1_20scan_config_selectorIjEEZZNS1_9scan_implILNS1_25lookback_scan_determinismE0ELb1ELb1ES3_PjS8_jN6hipcub16HIPCUB_304000_NS3SumEjEEDaPvRmT3_T4_T5_mT6_P12ihipStream_tbENKUlT_T0_E_clISt17integral_constantIbLb1EESO_IbLb0EEEEDaSK_SL_EUlSK_E0_NS1_11comp_targetILNS1_3genE10ELNS1_11target_archE1201ELNS1_3gpuE5ELNS1_3repE0EEENS1_30default_config_static_selectorELNS0_4arch9wavefront6targetE0EEEvT1_,comdat
	.protected	_ZN7rocprim17ROCPRIM_400000_NS6detail17trampoline_kernelINS0_14default_configENS1_20scan_config_selectorIjEEZZNS1_9scan_implILNS1_25lookback_scan_determinismE0ELb1ELb1ES3_PjS8_jN6hipcub16HIPCUB_304000_NS3SumEjEEDaPvRmT3_T4_T5_mT6_P12ihipStream_tbENKUlT_T0_E_clISt17integral_constantIbLb1EESO_IbLb0EEEEDaSK_SL_EUlSK_E0_NS1_11comp_targetILNS1_3genE10ELNS1_11target_archE1201ELNS1_3gpuE5ELNS1_3repE0EEENS1_30default_config_static_selectorELNS0_4arch9wavefront6targetE0EEEvT1_ ; -- Begin function _ZN7rocprim17ROCPRIM_400000_NS6detail17trampoline_kernelINS0_14default_configENS1_20scan_config_selectorIjEEZZNS1_9scan_implILNS1_25lookback_scan_determinismE0ELb1ELb1ES3_PjS8_jN6hipcub16HIPCUB_304000_NS3SumEjEEDaPvRmT3_T4_T5_mT6_P12ihipStream_tbENKUlT_T0_E_clISt17integral_constantIbLb1EESO_IbLb0EEEEDaSK_SL_EUlSK_E0_NS1_11comp_targetILNS1_3genE10ELNS1_11target_archE1201ELNS1_3gpuE5ELNS1_3repE0EEENS1_30default_config_static_selectorELNS0_4arch9wavefront6targetE0EEEvT1_
	.globl	_ZN7rocprim17ROCPRIM_400000_NS6detail17trampoline_kernelINS0_14default_configENS1_20scan_config_selectorIjEEZZNS1_9scan_implILNS1_25lookback_scan_determinismE0ELb1ELb1ES3_PjS8_jN6hipcub16HIPCUB_304000_NS3SumEjEEDaPvRmT3_T4_T5_mT6_P12ihipStream_tbENKUlT_T0_E_clISt17integral_constantIbLb1EESO_IbLb0EEEEDaSK_SL_EUlSK_E0_NS1_11comp_targetILNS1_3genE10ELNS1_11target_archE1201ELNS1_3gpuE5ELNS1_3repE0EEENS1_30default_config_static_selectorELNS0_4arch9wavefront6targetE0EEEvT1_
	.p2align	8
	.type	_ZN7rocprim17ROCPRIM_400000_NS6detail17trampoline_kernelINS0_14default_configENS1_20scan_config_selectorIjEEZZNS1_9scan_implILNS1_25lookback_scan_determinismE0ELb1ELb1ES3_PjS8_jN6hipcub16HIPCUB_304000_NS3SumEjEEDaPvRmT3_T4_T5_mT6_P12ihipStream_tbENKUlT_T0_E_clISt17integral_constantIbLb1EESO_IbLb0EEEEDaSK_SL_EUlSK_E0_NS1_11comp_targetILNS1_3genE10ELNS1_11target_archE1201ELNS1_3gpuE5ELNS1_3repE0EEENS1_30default_config_static_selectorELNS0_4arch9wavefront6targetE0EEEvT1_,@function
_ZN7rocprim17ROCPRIM_400000_NS6detail17trampoline_kernelINS0_14default_configENS1_20scan_config_selectorIjEEZZNS1_9scan_implILNS1_25lookback_scan_determinismE0ELb1ELb1ES3_PjS8_jN6hipcub16HIPCUB_304000_NS3SumEjEEDaPvRmT3_T4_T5_mT6_P12ihipStream_tbENKUlT_T0_E_clISt17integral_constantIbLb1EESO_IbLb0EEEEDaSK_SL_EUlSK_E0_NS1_11comp_targetILNS1_3genE10ELNS1_11target_archE1201ELNS1_3gpuE5ELNS1_3repE0EEENS1_30default_config_static_selectorELNS0_4arch9wavefront6targetE0EEEvT1_: ; @_ZN7rocprim17ROCPRIM_400000_NS6detail17trampoline_kernelINS0_14default_configENS1_20scan_config_selectorIjEEZZNS1_9scan_implILNS1_25lookback_scan_determinismE0ELb1ELb1ES3_PjS8_jN6hipcub16HIPCUB_304000_NS3SumEjEEDaPvRmT3_T4_T5_mT6_P12ihipStream_tbENKUlT_T0_E_clISt17integral_constantIbLb1EESO_IbLb0EEEEDaSK_SL_EUlSK_E0_NS1_11comp_targetILNS1_3genE10ELNS1_11target_archE1201ELNS1_3gpuE5ELNS1_3repE0EEENS1_30default_config_static_selectorELNS0_4arch9wavefront6targetE0EEEvT1_
; %bb.0:
	.section	.rodata,"a",@progbits
	.p2align	6, 0x0
	.amdhsa_kernel _ZN7rocprim17ROCPRIM_400000_NS6detail17trampoline_kernelINS0_14default_configENS1_20scan_config_selectorIjEEZZNS1_9scan_implILNS1_25lookback_scan_determinismE0ELb1ELb1ES3_PjS8_jN6hipcub16HIPCUB_304000_NS3SumEjEEDaPvRmT3_T4_T5_mT6_P12ihipStream_tbENKUlT_T0_E_clISt17integral_constantIbLb1EESO_IbLb0EEEEDaSK_SL_EUlSK_E0_NS1_11comp_targetILNS1_3genE10ELNS1_11target_archE1201ELNS1_3gpuE5ELNS1_3repE0EEENS1_30default_config_static_selectorELNS0_4arch9wavefront6targetE0EEEvT1_
		.amdhsa_group_segment_fixed_size 0
		.amdhsa_private_segment_fixed_size 0
		.amdhsa_kernarg_size 32
		.amdhsa_user_sgpr_count 2
		.amdhsa_user_sgpr_dispatch_ptr 0
		.amdhsa_user_sgpr_queue_ptr 0
		.amdhsa_user_sgpr_kernarg_segment_ptr 1
		.amdhsa_user_sgpr_dispatch_id 0
		.amdhsa_user_sgpr_kernarg_preload_length 0
		.amdhsa_user_sgpr_kernarg_preload_offset 0
		.amdhsa_user_sgpr_private_segment_size 0
		.amdhsa_wavefront_size32 1
		.amdhsa_uses_dynamic_stack 0
		.amdhsa_enable_private_segment 0
		.amdhsa_system_sgpr_workgroup_id_x 1
		.amdhsa_system_sgpr_workgroup_id_y 0
		.amdhsa_system_sgpr_workgroup_id_z 0
		.amdhsa_system_sgpr_workgroup_info 0
		.amdhsa_system_vgpr_workitem_id 0
		.amdhsa_next_free_vgpr 1
		.amdhsa_next_free_sgpr 1
		.amdhsa_named_barrier_count 0
		.amdhsa_reserve_vcc 0
		.amdhsa_float_round_mode_32 0
		.amdhsa_float_round_mode_16_64 0
		.amdhsa_float_denorm_mode_32 3
		.amdhsa_float_denorm_mode_16_64 3
		.amdhsa_fp16_overflow 0
		.amdhsa_memory_ordered 1
		.amdhsa_forward_progress 1
		.amdhsa_inst_pref_size 0
		.amdhsa_round_robin_scheduling 0
		.amdhsa_exception_fp_ieee_invalid_op 0
		.amdhsa_exception_fp_denorm_src 0
		.amdhsa_exception_fp_ieee_div_zero 0
		.amdhsa_exception_fp_ieee_overflow 0
		.amdhsa_exception_fp_ieee_underflow 0
		.amdhsa_exception_fp_ieee_inexact 0
		.amdhsa_exception_int_div_zero 0
	.end_amdhsa_kernel
	.section	.text._ZN7rocprim17ROCPRIM_400000_NS6detail17trampoline_kernelINS0_14default_configENS1_20scan_config_selectorIjEEZZNS1_9scan_implILNS1_25lookback_scan_determinismE0ELb1ELb1ES3_PjS8_jN6hipcub16HIPCUB_304000_NS3SumEjEEDaPvRmT3_T4_T5_mT6_P12ihipStream_tbENKUlT_T0_E_clISt17integral_constantIbLb1EESO_IbLb0EEEEDaSK_SL_EUlSK_E0_NS1_11comp_targetILNS1_3genE10ELNS1_11target_archE1201ELNS1_3gpuE5ELNS1_3repE0EEENS1_30default_config_static_selectorELNS0_4arch9wavefront6targetE0EEEvT1_,"axG",@progbits,_ZN7rocprim17ROCPRIM_400000_NS6detail17trampoline_kernelINS0_14default_configENS1_20scan_config_selectorIjEEZZNS1_9scan_implILNS1_25lookback_scan_determinismE0ELb1ELb1ES3_PjS8_jN6hipcub16HIPCUB_304000_NS3SumEjEEDaPvRmT3_T4_T5_mT6_P12ihipStream_tbENKUlT_T0_E_clISt17integral_constantIbLb1EESO_IbLb0EEEEDaSK_SL_EUlSK_E0_NS1_11comp_targetILNS1_3genE10ELNS1_11target_archE1201ELNS1_3gpuE5ELNS1_3repE0EEENS1_30default_config_static_selectorELNS0_4arch9wavefront6targetE0EEEvT1_,comdat
.Lfunc_end62:
	.size	_ZN7rocprim17ROCPRIM_400000_NS6detail17trampoline_kernelINS0_14default_configENS1_20scan_config_selectorIjEEZZNS1_9scan_implILNS1_25lookback_scan_determinismE0ELb1ELb1ES3_PjS8_jN6hipcub16HIPCUB_304000_NS3SumEjEEDaPvRmT3_T4_T5_mT6_P12ihipStream_tbENKUlT_T0_E_clISt17integral_constantIbLb1EESO_IbLb0EEEEDaSK_SL_EUlSK_E0_NS1_11comp_targetILNS1_3genE10ELNS1_11target_archE1201ELNS1_3gpuE5ELNS1_3repE0EEENS1_30default_config_static_selectorELNS0_4arch9wavefront6targetE0EEEvT1_, .Lfunc_end62-_ZN7rocprim17ROCPRIM_400000_NS6detail17trampoline_kernelINS0_14default_configENS1_20scan_config_selectorIjEEZZNS1_9scan_implILNS1_25lookback_scan_determinismE0ELb1ELb1ES3_PjS8_jN6hipcub16HIPCUB_304000_NS3SumEjEEDaPvRmT3_T4_T5_mT6_P12ihipStream_tbENKUlT_T0_E_clISt17integral_constantIbLb1EESO_IbLb0EEEEDaSK_SL_EUlSK_E0_NS1_11comp_targetILNS1_3genE10ELNS1_11target_archE1201ELNS1_3gpuE5ELNS1_3repE0EEENS1_30default_config_static_selectorELNS0_4arch9wavefront6targetE0EEEvT1_
                                        ; -- End function
	.set _ZN7rocprim17ROCPRIM_400000_NS6detail17trampoline_kernelINS0_14default_configENS1_20scan_config_selectorIjEEZZNS1_9scan_implILNS1_25lookback_scan_determinismE0ELb1ELb1ES3_PjS8_jN6hipcub16HIPCUB_304000_NS3SumEjEEDaPvRmT3_T4_T5_mT6_P12ihipStream_tbENKUlT_T0_E_clISt17integral_constantIbLb1EESO_IbLb0EEEEDaSK_SL_EUlSK_E0_NS1_11comp_targetILNS1_3genE10ELNS1_11target_archE1201ELNS1_3gpuE5ELNS1_3repE0EEENS1_30default_config_static_selectorELNS0_4arch9wavefront6targetE0EEEvT1_.num_vgpr, 0
	.set _ZN7rocprim17ROCPRIM_400000_NS6detail17trampoline_kernelINS0_14default_configENS1_20scan_config_selectorIjEEZZNS1_9scan_implILNS1_25lookback_scan_determinismE0ELb1ELb1ES3_PjS8_jN6hipcub16HIPCUB_304000_NS3SumEjEEDaPvRmT3_T4_T5_mT6_P12ihipStream_tbENKUlT_T0_E_clISt17integral_constantIbLb1EESO_IbLb0EEEEDaSK_SL_EUlSK_E0_NS1_11comp_targetILNS1_3genE10ELNS1_11target_archE1201ELNS1_3gpuE5ELNS1_3repE0EEENS1_30default_config_static_selectorELNS0_4arch9wavefront6targetE0EEEvT1_.num_agpr, 0
	.set _ZN7rocprim17ROCPRIM_400000_NS6detail17trampoline_kernelINS0_14default_configENS1_20scan_config_selectorIjEEZZNS1_9scan_implILNS1_25lookback_scan_determinismE0ELb1ELb1ES3_PjS8_jN6hipcub16HIPCUB_304000_NS3SumEjEEDaPvRmT3_T4_T5_mT6_P12ihipStream_tbENKUlT_T0_E_clISt17integral_constantIbLb1EESO_IbLb0EEEEDaSK_SL_EUlSK_E0_NS1_11comp_targetILNS1_3genE10ELNS1_11target_archE1201ELNS1_3gpuE5ELNS1_3repE0EEENS1_30default_config_static_selectorELNS0_4arch9wavefront6targetE0EEEvT1_.numbered_sgpr, 0
	.set _ZN7rocprim17ROCPRIM_400000_NS6detail17trampoline_kernelINS0_14default_configENS1_20scan_config_selectorIjEEZZNS1_9scan_implILNS1_25lookback_scan_determinismE0ELb1ELb1ES3_PjS8_jN6hipcub16HIPCUB_304000_NS3SumEjEEDaPvRmT3_T4_T5_mT6_P12ihipStream_tbENKUlT_T0_E_clISt17integral_constantIbLb1EESO_IbLb0EEEEDaSK_SL_EUlSK_E0_NS1_11comp_targetILNS1_3genE10ELNS1_11target_archE1201ELNS1_3gpuE5ELNS1_3repE0EEENS1_30default_config_static_selectorELNS0_4arch9wavefront6targetE0EEEvT1_.num_named_barrier, 0
	.set _ZN7rocprim17ROCPRIM_400000_NS6detail17trampoline_kernelINS0_14default_configENS1_20scan_config_selectorIjEEZZNS1_9scan_implILNS1_25lookback_scan_determinismE0ELb1ELb1ES3_PjS8_jN6hipcub16HIPCUB_304000_NS3SumEjEEDaPvRmT3_T4_T5_mT6_P12ihipStream_tbENKUlT_T0_E_clISt17integral_constantIbLb1EESO_IbLb0EEEEDaSK_SL_EUlSK_E0_NS1_11comp_targetILNS1_3genE10ELNS1_11target_archE1201ELNS1_3gpuE5ELNS1_3repE0EEENS1_30default_config_static_selectorELNS0_4arch9wavefront6targetE0EEEvT1_.private_seg_size, 0
	.set _ZN7rocprim17ROCPRIM_400000_NS6detail17trampoline_kernelINS0_14default_configENS1_20scan_config_selectorIjEEZZNS1_9scan_implILNS1_25lookback_scan_determinismE0ELb1ELb1ES3_PjS8_jN6hipcub16HIPCUB_304000_NS3SumEjEEDaPvRmT3_T4_T5_mT6_P12ihipStream_tbENKUlT_T0_E_clISt17integral_constantIbLb1EESO_IbLb0EEEEDaSK_SL_EUlSK_E0_NS1_11comp_targetILNS1_3genE10ELNS1_11target_archE1201ELNS1_3gpuE5ELNS1_3repE0EEENS1_30default_config_static_selectorELNS0_4arch9wavefront6targetE0EEEvT1_.uses_vcc, 0
	.set _ZN7rocprim17ROCPRIM_400000_NS6detail17trampoline_kernelINS0_14default_configENS1_20scan_config_selectorIjEEZZNS1_9scan_implILNS1_25lookback_scan_determinismE0ELb1ELb1ES3_PjS8_jN6hipcub16HIPCUB_304000_NS3SumEjEEDaPvRmT3_T4_T5_mT6_P12ihipStream_tbENKUlT_T0_E_clISt17integral_constantIbLb1EESO_IbLb0EEEEDaSK_SL_EUlSK_E0_NS1_11comp_targetILNS1_3genE10ELNS1_11target_archE1201ELNS1_3gpuE5ELNS1_3repE0EEENS1_30default_config_static_selectorELNS0_4arch9wavefront6targetE0EEEvT1_.uses_flat_scratch, 0
	.set _ZN7rocprim17ROCPRIM_400000_NS6detail17trampoline_kernelINS0_14default_configENS1_20scan_config_selectorIjEEZZNS1_9scan_implILNS1_25lookback_scan_determinismE0ELb1ELb1ES3_PjS8_jN6hipcub16HIPCUB_304000_NS3SumEjEEDaPvRmT3_T4_T5_mT6_P12ihipStream_tbENKUlT_T0_E_clISt17integral_constantIbLb1EESO_IbLb0EEEEDaSK_SL_EUlSK_E0_NS1_11comp_targetILNS1_3genE10ELNS1_11target_archE1201ELNS1_3gpuE5ELNS1_3repE0EEENS1_30default_config_static_selectorELNS0_4arch9wavefront6targetE0EEEvT1_.has_dyn_sized_stack, 0
	.set _ZN7rocprim17ROCPRIM_400000_NS6detail17trampoline_kernelINS0_14default_configENS1_20scan_config_selectorIjEEZZNS1_9scan_implILNS1_25lookback_scan_determinismE0ELb1ELb1ES3_PjS8_jN6hipcub16HIPCUB_304000_NS3SumEjEEDaPvRmT3_T4_T5_mT6_P12ihipStream_tbENKUlT_T0_E_clISt17integral_constantIbLb1EESO_IbLb0EEEEDaSK_SL_EUlSK_E0_NS1_11comp_targetILNS1_3genE10ELNS1_11target_archE1201ELNS1_3gpuE5ELNS1_3repE0EEENS1_30default_config_static_selectorELNS0_4arch9wavefront6targetE0EEEvT1_.has_recursion, 0
	.set _ZN7rocprim17ROCPRIM_400000_NS6detail17trampoline_kernelINS0_14default_configENS1_20scan_config_selectorIjEEZZNS1_9scan_implILNS1_25lookback_scan_determinismE0ELb1ELb1ES3_PjS8_jN6hipcub16HIPCUB_304000_NS3SumEjEEDaPvRmT3_T4_T5_mT6_P12ihipStream_tbENKUlT_T0_E_clISt17integral_constantIbLb1EESO_IbLb0EEEEDaSK_SL_EUlSK_E0_NS1_11comp_targetILNS1_3genE10ELNS1_11target_archE1201ELNS1_3gpuE5ELNS1_3repE0EEENS1_30default_config_static_selectorELNS0_4arch9wavefront6targetE0EEEvT1_.has_indirect_call, 0
	.section	.AMDGPU.csdata,"",@progbits
; Kernel info:
; codeLenInByte = 0
; TotalNumSgprs: 0
; NumVgprs: 0
; ScratchSize: 0
; MemoryBound: 0
; FloatMode: 240
; IeeeMode: 1
; LDSByteSize: 0 bytes/workgroup (compile time only)
; SGPRBlocks: 0
; VGPRBlocks: 0
; NumSGPRsForWavesPerEU: 1
; NumVGPRsForWavesPerEU: 1
; NamedBarCnt: 0
; Occupancy: 16
; WaveLimiterHint : 0
; COMPUTE_PGM_RSRC2:SCRATCH_EN: 0
; COMPUTE_PGM_RSRC2:USER_SGPR: 2
; COMPUTE_PGM_RSRC2:TRAP_HANDLER: 0
; COMPUTE_PGM_RSRC2:TGID_X_EN: 1
; COMPUTE_PGM_RSRC2:TGID_Y_EN: 0
; COMPUTE_PGM_RSRC2:TGID_Z_EN: 0
; COMPUTE_PGM_RSRC2:TIDIG_COMP_CNT: 0
	.section	.text._ZN7rocprim17ROCPRIM_400000_NS6detail17trampoline_kernelINS0_14default_configENS1_20scan_config_selectorIjEEZZNS1_9scan_implILNS1_25lookback_scan_determinismE0ELb1ELb1ES3_PjS8_jN6hipcub16HIPCUB_304000_NS3SumEjEEDaPvRmT3_T4_T5_mT6_P12ihipStream_tbENKUlT_T0_E_clISt17integral_constantIbLb1EESO_IbLb0EEEEDaSK_SL_EUlSK_E0_NS1_11comp_targetILNS1_3genE10ELNS1_11target_archE1200ELNS1_3gpuE4ELNS1_3repE0EEENS1_30default_config_static_selectorELNS0_4arch9wavefront6targetE0EEEvT1_,"axG",@progbits,_ZN7rocprim17ROCPRIM_400000_NS6detail17trampoline_kernelINS0_14default_configENS1_20scan_config_selectorIjEEZZNS1_9scan_implILNS1_25lookback_scan_determinismE0ELb1ELb1ES3_PjS8_jN6hipcub16HIPCUB_304000_NS3SumEjEEDaPvRmT3_T4_T5_mT6_P12ihipStream_tbENKUlT_T0_E_clISt17integral_constantIbLb1EESO_IbLb0EEEEDaSK_SL_EUlSK_E0_NS1_11comp_targetILNS1_3genE10ELNS1_11target_archE1200ELNS1_3gpuE4ELNS1_3repE0EEENS1_30default_config_static_selectorELNS0_4arch9wavefront6targetE0EEEvT1_,comdat
	.protected	_ZN7rocprim17ROCPRIM_400000_NS6detail17trampoline_kernelINS0_14default_configENS1_20scan_config_selectorIjEEZZNS1_9scan_implILNS1_25lookback_scan_determinismE0ELb1ELb1ES3_PjS8_jN6hipcub16HIPCUB_304000_NS3SumEjEEDaPvRmT3_T4_T5_mT6_P12ihipStream_tbENKUlT_T0_E_clISt17integral_constantIbLb1EESO_IbLb0EEEEDaSK_SL_EUlSK_E0_NS1_11comp_targetILNS1_3genE10ELNS1_11target_archE1200ELNS1_3gpuE4ELNS1_3repE0EEENS1_30default_config_static_selectorELNS0_4arch9wavefront6targetE0EEEvT1_ ; -- Begin function _ZN7rocprim17ROCPRIM_400000_NS6detail17trampoline_kernelINS0_14default_configENS1_20scan_config_selectorIjEEZZNS1_9scan_implILNS1_25lookback_scan_determinismE0ELb1ELb1ES3_PjS8_jN6hipcub16HIPCUB_304000_NS3SumEjEEDaPvRmT3_T4_T5_mT6_P12ihipStream_tbENKUlT_T0_E_clISt17integral_constantIbLb1EESO_IbLb0EEEEDaSK_SL_EUlSK_E0_NS1_11comp_targetILNS1_3genE10ELNS1_11target_archE1200ELNS1_3gpuE4ELNS1_3repE0EEENS1_30default_config_static_selectorELNS0_4arch9wavefront6targetE0EEEvT1_
	.globl	_ZN7rocprim17ROCPRIM_400000_NS6detail17trampoline_kernelINS0_14default_configENS1_20scan_config_selectorIjEEZZNS1_9scan_implILNS1_25lookback_scan_determinismE0ELb1ELb1ES3_PjS8_jN6hipcub16HIPCUB_304000_NS3SumEjEEDaPvRmT3_T4_T5_mT6_P12ihipStream_tbENKUlT_T0_E_clISt17integral_constantIbLb1EESO_IbLb0EEEEDaSK_SL_EUlSK_E0_NS1_11comp_targetILNS1_3genE10ELNS1_11target_archE1200ELNS1_3gpuE4ELNS1_3repE0EEENS1_30default_config_static_selectorELNS0_4arch9wavefront6targetE0EEEvT1_
	.p2align	8
	.type	_ZN7rocprim17ROCPRIM_400000_NS6detail17trampoline_kernelINS0_14default_configENS1_20scan_config_selectorIjEEZZNS1_9scan_implILNS1_25lookback_scan_determinismE0ELb1ELb1ES3_PjS8_jN6hipcub16HIPCUB_304000_NS3SumEjEEDaPvRmT3_T4_T5_mT6_P12ihipStream_tbENKUlT_T0_E_clISt17integral_constantIbLb1EESO_IbLb0EEEEDaSK_SL_EUlSK_E0_NS1_11comp_targetILNS1_3genE10ELNS1_11target_archE1200ELNS1_3gpuE4ELNS1_3repE0EEENS1_30default_config_static_selectorELNS0_4arch9wavefront6targetE0EEEvT1_,@function
_ZN7rocprim17ROCPRIM_400000_NS6detail17trampoline_kernelINS0_14default_configENS1_20scan_config_selectorIjEEZZNS1_9scan_implILNS1_25lookback_scan_determinismE0ELb1ELb1ES3_PjS8_jN6hipcub16HIPCUB_304000_NS3SumEjEEDaPvRmT3_T4_T5_mT6_P12ihipStream_tbENKUlT_T0_E_clISt17integral_constantIbLb1EESO_IbLb0EEEEDaSK_SL_EUlSK_E0_NS1_11comp_targetILNS1_3genE10ELNS1_11target_archE1200ELNS1_3gpuE4ELNS1_3repE0EEENS1_30default_config_static_selectorELNS0_4arch9wavefront6targetE0EEEvT1_: ; @_ZN7rocprim17ROCPRIM_400000_NS6detail17trampoline_kernelINS0_14default_configENS1_20scan_config_selectorIjEEZZNS1_9scan_implILNS1_25lookback_scan_determinismE0ELb1ELb1ES3_PjS8_jN6hipcub16HIPCUB_304000_NS3SumEjEEDaPvRmT3_T4_T5_mT6_P12ihipStream_tbENKUlT_T0_E_clISt17integral_constantIbLb1EESO_IbLb0EEEEDaSK_SL_EUlSK_E0_NS1_11comp_targetILNS1_3genE10ELNS1_11target_archE1200ELNS1_3gpuE4ELNS1_3repE0EEENS1_30default_config_static_selectorELNS0_4arch9wavefront6targetE0EEEvT1_
; %bb.0:
	.section	.rodata,"a",@progbits
	.p2align	6, 0x0
	.amdhsa_kernel _ZN7rocprim17ROCPRIM_400000_NS6detail17trampoline_kernelINS0_14default_configENS1_20scan_config_selectorIjEEZZNS1_9scan_implILNS1_25lookback_scan_determinismE0ELb1ELb1ES3_PjS8_jN6hipcub16HIPCUB_304000_NS3SumEjEEDaPvRmT3_T4_T5_mT6_P12ihipStream_tbENKUlT_T0_E_clISt17integral_constantIbLb1EESO_IbLb0EEEEDaSK_SL_EUlSK_E0_NS1_11comp_targetILNS1_3genE10ELNS1_11target_archE1200ELNS1_3gpuE4ELNS1_3repE0EEENS1_30default_config_static_selectorELNS0_4arch9wavefront6targetE0EEEvT1_
		.amdhsa_group_segment_fixed_size 0
		.amdhsa_private_segment_fixed_size 0
		.amdhsa_kernarg_size 32
		.amdhsa_user_sgpr_count 2
		.amdhsa_user_sgpr_dispatch_ptr 0
		.amdhsa_user_sgpr_queue_ptr 0
		.amdhsa_user_sgpr_kernarg_segment_ptr 1
		.amdhsa_user_sgpr_dispatch_id 0
		.amdhsa_user_sgpr_kernarg_preload_length 0
		.amdhsa_user_sgpr_kernarg_preload_offset 0
		.amdhsa_user_sgpr_private_segment_size 0
		.amdhsa_wavefront_size32 1
		.amdhsa_uses_dynamic_stack 0
		.amdhsa_enable_private_segment 0
		.amdhsa_system_sgpr_workgroup_id_x 1
		.amdhsa_system_sgpr_workgroup_id_y 0
		.amdhsa_system_sgpr_workgroup_id_z 0
		.amdhsa_system_sgpr_workgroup_info 0
		.amdhsa_system_vgpr_workitem_id 0
		.amdhsa_next_free_vgpr 1
		.amdhsa_next_free_sgpr 1
		.amdhsa_named_barrier_count 0
		.amdhsa_reserve_vcc 0
		.amdhsa_float_round_mode_32 0
		.amdhsa_float_round_mode_16_64 0
		.amdhsa_float_denorm_mode_32 3
		.amdhsa_float_denorm_mode_16_64 3
		.amdhsa_fp16_overflow 0
		.amdhsa_memory_ordered 1
		.amdhsa_forward_progress 1
		.amdhsa_inst_pref_size 0
		.amdhsa_round_robin_scheduling 0
		.amdhsa_exception_fp_ieee_invalid_op 0
		.amdhsa_exception_fp_denorm_src 0
		.amdhsa_exception_fp_ieee_div_zero 0
		.amdhsa_exception_fp_ieee_overflow 0
		.amdhsa_exception_fp_ieee_underflow 0
		.amdhsa_exception_fp_ieee_inexact 0
		.amdhsa_exception_int_div_zero 0
	.end_amdhsa_kernel
	.section	.text._ZN7rocprim17ROCPRIM_400000_NS6detail17trampoline_kernelINS0_14default_configENS1_20scan_config_selectorIjEEZZNS1_9scan_implILNS1_25lookback_scan_determinismE0ELb1ELb1ES3_PjS8_jN6hipcub16HIPCUB_304000_NS3SumEjEEDaPvRmT3_T4_T5_mT6_P12ihipStream_tbENKUlT_T0_E_clISt17integral_constantIbLb1EESO_IbLb0EEEEDaSK_SL_EUlSK_E0_NS1_11comp_targetILNS1_3genE10ELNS1_11target_archE1200ELNS1_3gpuE4ELNS1_3repE0EEENS1_30default_config_static_selectorELNS0_4arch9wavefront6targetE0EEEvT1_,"axG",@progbits,_ZN7rocprim17ROCPRIM_400000_NS6detail17trampoline_kernelINS0_14default_configENS1_20scan_config_selectorIjEEZZNS1_9scan_implILNS1_25lookback_scan_determinismE0ELb1ELb1ES3_PjS8_jN6hipcub16HIPCUB_304000_NS3SumEjEEDaPvRmT3_T4_T5_mT6_P12ihipStream_tbENKUlT_T0_E_clISt17integral_constantIbLb1EESO_IbLb0EEEEDaSK_SL_EUlSK_E0_NS1_11comp_targetILNS1_3genE10ELNS1_11target_archE1200ELNS1_3gpuE4ELNS1_3repE0EEENS1_30default_config_static_selectorELNS0_4arch9wavefront6targetE0EEEvT1_,comdat
.Lfunc_end63:
	.size	_ZN7rocprim17ROCPRIM_400000_NS6detail17trampoline_kernelINS0_14default_configENS1_20scan_config_selectorIjEEZZNS1_9scan_implILNS1_25lookback_scan_determinismE0ELb1ELb1ES3_PjS8_jN6hipcub16HIPCUB_304000_NS3SumEjEEDaPvRmT3_T4_T5_mT6_P12ihipStream_tbENKUlT_T0_E_clISt17integral_constantIbLb1EESO_IbLb0EEEEDaSK_SL_EUlSK_E0_NS1_11comp_targetILNS1_3genE10ELNS1_11target_archE1200ELNS1_3gpuE4ELNS1_3repE0EEENS1_30default_config_static_selectorELNS0_4arch9wavefront6targetE0EEEvT1_, .Lfunc_end63-_ZN7rocprim17ROCPRIM_400000_NS6detail17trampoline_kernelINS0_14default_configENS1_20scan_config_selectorIjEEZZNS1_9scan_implILNS1_25lookback_scan_determinismE0ELb1ELb1ES3_PjS8_jN6hipcub16HIPCUB_304000_NS3SumEjEEDaPvRmT3_T4_T5_mT6_P12ihipStream_tbENKUlT_T0_E_clISt17integral_constantIbLb1EESO_IbLb0EEEEDaSK_SL_EUlSK_E0_NS1_11comp_targetILNS1_3genE10ELNS1_11target_archE1200ELNS1_3gpuE4ELNS1_3repE0EEENS1_30default_config_static_selectorELNS0_4arch9wavefront6targetE0EEEvT1_
                                        ; -- End function
	.set _ZN7rocprim17ROCPRIM_400000_NS6detail17trampoline_kernelINS0_14default_configENS1_20scan_config_selectorIjEEZZNS1_9scan_implILNS1_25lookback_scan_determinismE0ELb1ELb1ES3_PjS8_jN6hipcub16HIPCUB_304000_NS3SumEjEEDaPvRmT3_T4_T5_mT6_P12ihipStream_tbENKUlT_T0_E_clISt17integral_constantIbLb1EESO_IbLb0EEEEDaSK_SL_EUlSK_E0_NS1_11comp_targetILNS1_3genE10ELNS1_11target_archE1200ELNS1_3gpuE4ELNS1_3repE0EEENS1_30default_config_static_selectorELNS0_4arch9wavefront6targetE0EEEvT1_.num_vgpr, 0
	.set _ZN7rocprim17ROCPRIM_400000_NS6detail17trampoline_kernelINS0_14default_configENS1_20scan_config_selectorIjEEZZNS1_9scan_implILNS1_25lookback_scan_determinismE0ELb1ELb1ES3_PjS8_jN6hipcub16HIPCUB_304000_NS3SumEjEEDaPvRmT3_T4_T5_mT6_P12ihipStream_tbENKUlT_T0_E_clISt17integral_constantIbLb1EESO_IbLb0EEEEDaSK_SL_EUlSK_E0_NS1_11comp_targetILNS1_3genE10ELNS1_11target_archE1200ELNS1_3gpuE4ELNS1_3repE0EEENS1_30default_config_static_selectorELNS0_4arch9wavefront6targetE0EEEvT1_.num_agpr, 0
	.set _ZN7rocprim17ROCPRIM_400000_NS6detail17trampoline_kernelINS0_14default_configENS1_20scan_config_selectorIjEEZZNS1_9scan_implILNS1_25lookback_scan_determinismE0ELb1ELb1ES3_PjS8_jN6hipcub16HIPCUB_304000_NS3SumEjEEDaPvRmT3_T4_T5_mT6_P12ihipStream_tbENKUlT_T0_E_clISt17integral_constantIbLb1EESO_IbLb0EEEEDaSK_SL_EUlSK_E0_NS1_11comp_targetILNS1_3genE10ELNS1_11target_archE1200ELNS1_3gpuE4ELNS1_3repE0EEENS1_30default_config_static_selectorELNS0_4arch9wavefront6targetE0EEEvT1_.numbered_sgpr, 0
	.set _ZN7rocprim17ROCPRIM_400000_NS6detail17trampoline_kernelINS0_14default_configENS1_20scan_config_selectorIjEEZZNS1_9scan_implILNS1_25lookback_scan_determinismE0ELb1ELb1ES3_PjS8_jN6hipcub16HIPCUB_304000_NS3SumEjEEDaPvRmT3_T4_T5_mT6_P12ihipStream_tbENKUlT_T0_E_clISt17integral_constantIbLb1EESO_IbLb0EEEEDaSK_SL_EUlSK_E0_NS1_11comp_targetILNS1_3genE10ELNS1_11target_archE1200ELNS1_3gpuE4ELNS1_3repE0EEENS1_30default_config_static_selectorELNS0_4arch9wavefront6targetE0EEEvT1_.num_named_barrier, 0
	.set _ZN7rocprim17ROCPRIM_400000_NS6detail17trampoline_kernelINS0_14default_configENS1_20scan_config_selectorIjEEZZNS1_9scan_implILNS1_25lookback_scan_determinismE0ELb1ELb1ES3_PjS8_jN6hipcub16HIPCUB_304000_NS3SumEjEEDaPvRmT3_T4_T5_mT6_P12ihipStream_tbENKUlT_T0_E_clISt17integral_constantIbLb1EESO_IbLb0EEEEDaSK_SL_EUlSK_E0_NS1_11comp_targetILNS1_3genE10ELNS1_11target_archE1200ELNS1_3gpuE4ELNS1_3repE0EEENS1_30default_config_static_selectorELNS0_4arch9wavefront6targetE0EEEvT1_.private_seg_size, 0
	.set _ZN7rocprim17ROCPRIM_400000_NS6detail17trampoline_kernelINS0_14default_configENS1_20scan_config_selectorIjEEZZNS1_9scan_implILNS1_25lookback_scan_determinismE0ELb1ELb1ES3_PjS8_jN6hipcub16HIPCUB_304000_NS3SumEjEEDaPvRmT3_T4_T5_mT6_P12ihipStream_tbENKUlT_T0_E_clISt17integral_constantIbLb1EESO_IbLb0EEEEDaSK_SL_EUlSK_E0_NS1_11comp_targetILNS1_3genE10ELNS1_11target_archE1200ELNS1_3gpuE4ELNS1_3repE0EEENS1_30default_config_static_selectorELNS0_4arch9wavefront6targetE0EEEvT1_.uses_vcc, 0
	.set _ZN7rocprim17ROCPRIM_400000_NS6detail17trampoline_kernelINS0_14default_configENS1_20scan_config_selectorIjEEZZNS1_9scan_implILNS1_25lookback_scan_determinismE0ELb1ELb1ES3_PjS8_jN6hipcub16HIPCUB_304000_NS3SumEjEEDaPvRmT3_T4_T5_mT6_P12ihipStream_tbENKUlT_T0_E_clISt17integral_constantIbLb1EESO_IbLb0EEEEDaSK_SL_EUlSK_E0_NS1_11comp_targetILNS1_3genE10ELNS1_11target_archE1200ELNS1_3gpuE4ELNS1_3repE0EEENS1_30default_config_static_selectorELNS0_4arch9wavefront6targetE0EEEvT1_.uses_flat_scratch, 0
	.set _ZN7rocprim17ROCPRIM_400000_NS6detail17trampoline_kernelINS0_14default_configENS1_20scan_config_selectorIjEEZZNS1_9scan_implILNS1_25lookback_scan_determinismE0ELb1ELb1ES3_PjS8_jN6hipcub16HIPCUB_304000_NS3SumEjEEDaPvRmT3_T4_T5_mT6_P12ihipStream_tbENKUlT_T0_E_clISt17integral_constantIbLb1EESO_IbLb0EEEEDaSK_SL_EUlSK_E0_NS1_11comp_targetILNS1_3genE10ELNS1_11target_archE1200ELNS1_3gpuE4ELNS1_3repE0EEENS1_30default_config_static_selectorELNS0_4arch9wavefront6targetE0EEEvT1_.has_dyn_sized_stack, 0
	.set _ZN7rocprim17ROCPRIM_400000_NS6detail17trampoline_kernelINS0_14default_configENS1_20scan_config_selectorIjEEZZNS1_9scan_implILNS1_25lookback_scan_determinismE0ELb1ELb1ES3_PjS8_jN6hipcub16HIPCUB_304000_NS3SumEjEEDaPvRmT3_T4_T5_mT6_P12ihipStream_tbENKUlT_T0_E_clISt17integral_constantIbLb1EESO_IbLb0EEEEDaSK_SL_EUlSK_E0_NS1_11comp_targetILNS1_3genE10ELNS1_11target_archE1200ELNS1_3gpuE4ELNS1_3repE0EEENS1_30default_config_static_selectorELNS0_4arch9wavefront6targetE0EEEvT1_.has_recursion, 0
	.set _ZN7rocprim17ROCPRIM_400000_NS6detail17trampoline_kernelINS0_14default_configENS1_20scan_config_selectorIjEEZZNS1_9scan_implILNS1_25lookback_scan_determinismE0ELb1ELb1ES3_PjS8_jN6hipcub16HIPCUB_304000_NS3SumEjEEDaPvRmT3_T4_T5_mT6_P12ihipStream_tbENKUlT_T0_E_clISt17integral_constantIbLb1EESO_IbLb0EEEEDaSK_SL_EUlSK_E0_NS1_11comp_targetILNS1_3genE10ELNS1_11target_archE1200ELNS1_3gpuE4ELNS1_3repE0EEENS1_30default_config_static_selectorELNS0_4arch9wavefront6targetE0EEEvT1_.has_indirect_call, 0
	.section	.AMDGPU.csdata,"",@progbits
; Kernel info:
; codeLenInByte = 0
; TotalNumSgprs: 0
; NumVgprs: 0
; ScratchSize: 0
; MemoryBound: 0
; FloatMode: 240
; IeeeMode: 1
; LDSByteSize: 0 bytes/workgroup (compile time only)
; SGPRBlocks: 0
; VGPRBlocks: 0
; NumSGPRsForWavesPerEU: 1
; NumVGPRsForWavesPerEU: 1
; NamedBarCnt: 0
; Occupancy: 16
; WaveLimiterHint : 0
; COMPUTE_PGM_RSRC2:SCRATCH_EN: 0
; COMPUTE_PGM_RSRC2:USER_SGPR: 2
; COMPUTE_PGM_RSRC2:TRAP_HANDLER: 0
; COMPUTE_PGM_RSRC2:TGID_X_EN: 1
; COMPUTE_PGM_RSRC2:TGID_Y_EN: 0
; COMPUTE_PGM_RSRC2:TGID_Z_EN: 0
; COMPUTE_PGM_RSRC2:TIDIG_COMP_CNT: 0
	.section	.text._ZN7rocprim17ROCPRIM_400000_NS6detail17trampoline_kernelINS0_14default_configENS1_20scan_config_selectorIjEEZZNS1_9scan_implILNS1_25lookback_scan_determinismE0ELb1ELb1ES3_PjS8_jN6hipcub16HIPCUB_304000_NS3SumEjEEDaPvRmT3_T4_T5_mT6_P12ihipStream_tbENKUlT_T0_E_clISt17integral_constantIbLb1EESO_IbLb0EEEEDaSK_SL_EUlSK_E0_NS1_11comp_targetILNS1_3genE9ELNS1_11target_archE1100ELNS1_3gpuE3ELNS1_3repE0EEENS1_30default_config_static_selectorELNS0_4arch9wavefront6targetE0EEEvT1_,"axG",@progbits,_ZN7rocprim17ROCPRIM_400000_NS6detail17trampoline_kernelINS0_14default_configENS1_20scan_config_selectorIjEEZZNS1_9scan_implILNS1_25lookback_scan_determinismE0ELb1ELb1ES3_PjS8_jN6hipcub16HIPCUB_304000_NS3SumEjEEDaPvRmT3_T4_T5_mT6_P12ihipStream_tbENKUlT_T0_E_clISt17integral_constantIbLb1EESO_IbLb0EEEEDaSK_SL_EUlSK_E0_NS1_11comp_targetILNS1_3genE9ELNS1_11target_archE1100ELNS1_3gpuE3ELNS1_3repE0EEENS1_30default_config_static_selectorELNS0_4arch9wavefront6targetE0EEEvT1_,comdat
	.protected	_ZN7rocprim17ROCPRIM_400000_NS6detail17trampoline_kernelINS0_14default_configENS1_20scan_config_selectorIjEEZZNS1_9scan_implILNS1_25lookback_scan_determinismE0ELb1ELb1ES3_PjS8_jN6hipcub16HIPCUB_304000_NS3SumEjEEDaPvRmT3_T4_T5_mT6_P12ihipStream_tbENKUlT_T0_E_clISt17integral_constantIbLb1EESO_IbLb0EEEEDaSK_SL_EUlSK_E0_NS1_11comp_targetILNS1_3genE9ELNS1_11target_archE1100ELNS1_3gpuE3ELNS1_3repE0EEENS1_30default_config_static_selectorELNS0_4arch9wavefront6targetE0EEEvT1_ ; -- Begin function _ZN7rocprim17ROCPRIM_400000_NS6detail17trampoline_kernelINS0_14default_configENS1_20scan_config_selectorIjEEZZNS1_9scan_implILNS1_25lookback_scan_determinismE0ELb1ELb1ES3_PjS8_jN6hipcub16HIPCUB_304000_NS3SumEjEEDaPvRmT3_T4_T5_mT6_P12ihipStream_tbENKUlT_T0_E_clISt17integral_constantIbLb1EESO_IbLb0EEEEDaSK_SL_EUlSK_E0_NS1_11comp_targetILNS1_3genE9ELNS1_11target_archE1100ELNS1_3gpuE3ELNS1_3repE0EEENS1_30default_config_static_selectorELNS0_4arch9wavefront6targetE0EEEvT1_
	.globl	_ZN7rocprim17ROCPRIM_400000_NS6detail17trampoline_kernelINS0_14default_configENS1_20scan_config_selectorIjEEZZNS1_9scan_implILNS1_25lookback_scan_determinismE0ELb1ELb1ES3_PjS8_jN6hipcub16HIPCUB_304000_NS3SumEjEEDaPvRmT3_T4_T5_mT6_P12ihipStream_tbENKUlT_T0_E_clISt17integral_constantIbLb1EESO_IbLb0EEEEDaSK_SL_EUlSK_E0_NS1_11comp_targetILNS1_3genE9ELNS1_11target_archE1100ELNS1_3gpuE3ELNS1_3repE0EEENS1_30default_config_static_selectorELNS0_4arch9wavefront6targetE0EEEvT1_
	.p2align	8
	.type	_ZN7rocprim17ROCPRIM_400000_NS6detail17trampoline_kernelINS0_14default_configENS1_20scan_config_selectorIjEEZZNS1_9scan_implILNS1_25lookback_scan_determinismE0ELb1ELb1ES3_PjS8_jN6hipcub16HIPCUB_304000_NS3SumEjEEDaPvRmT3_T4_T5_mT6_P12ihipStream_tbENKUlT_T0_E_clISt17integral_constantIbLb1EESO_IbLb0EEEEDaSK_SL_EUlSK_E0_NS1_11comp_targetILNS1_3genE9ELNS1_11target_archE1100ELNS1_3gpuE3ELNS1_3repE0EEENS1_30default_config_static_selectorELNS0_4arch9wavefront6targetE0EEEvT1_,@function
_ZN7rocprim17ROCPRIM_400000_NS6detail17trampoline_kernelINS0_14default_configENS1_20scan_config_selectorIjEEZZNS1_9scan_implILNS1_25lookback_scan_determinismE0ELb1ELb1ES3_PjS8_jN6hipcub16HIPCUB_304000_NS3SumEjEEDaPvRmT3_T4_T5_mT6_P12ihipStream_tbENKUlT_T0_E_clISt17integral_constantIbLb1EESO_IbLb0EEEEDaSK_SL_EUlSK_E0_NS1_11comp_targetILNS1_3genE9ELNS1_11target_archE1100ELNS1_3gpuE3ELNS1_3repE0EEENS1_30default_config_static_selectorELNS0_4arch9wavefront6targetE0EEEvT1_: ; @_ZN7rocprim17ROCPRIM_400000_NS6detail17trampoline_kernelINS0_14default_configENS1_20scan_config_selectorIjEEZZNS1_9scan_implILNS1_25lookback_scan_determinismE0ELb1ELb1ES3_PjS8_jN6hipcub16HIPCUB_304000_NS3SumEjEEDaPvRmT3_T4_T5_mT6_P12ihipStream_tbENKUlT_T0_E_clISt17integral_constantIbLb1EESO_IbLb0EEEEDaSK_SL_EUlSK_E0_NS1_11comp_targetILNS1_3genE9ELNS1_11target_archE1100ELNS1_3gpuE3ELNS1_3repE0EEENS1_30default_config_static_selectorELNS0_4arch9wavefront6targetE0EEEvT1_
; %bb.0:
	.section	.rodata,"a",@progbits
	.p2align	6, 0x0
	.amdhsa_kernel _ZN7rocprim17ROCPRIM_400000_NS6detail17trampoline_kernelINS0_14default_configENS1_20scan_config_selectorIjEEZZNS1_9scan_implILNS1_25lookback_scan_determinismE0ELb1ELb1ES3_PjS8_jN6hipcub16HIPCUB_304000_NS3SumEjEEDaPvRmT3_T4_T5_mT6_P12ihipStream_tbENKUlT_T0_E_clISt17integral_constantIbLb1EESO_IbLb0EEEEDaSK_SL_EUlSK_E0_NS1_11comp_targetILNS1_3genE9ELNS1_11target_archE1100ELNS1_3gpuE3ELNS1_3repE0EEENS1_30default_config_static_selectorELNS0_4arch9wavefront6targetE0EEEvT1_
		.amdhsa_group_segment_fixed_size 0
		.amdhsa_private_segment_fixed_size 0
		.amdhsa_kernarg_size 32
		.amdhsa_user_sgpr_count 2
		.amdhsa_user_sgpr_dispatch_ptr 0
		.amdhsa_user_sgpr_queue_ptr 0
		.amdhsa_user_sgpr_kernarg_segment_ptr 1
		.amdhsa_user_sgpr_dispatch_id 0
		.amdhsa_user_sgpr_kernarg_preload_length 0
		.amdhsa_user_sgpr_kernarg_preload_offset 0
		.amdhsa_user_sgpr_private_segment_size 0
		.amdhsa_wavefront_size32 1
		.amdhsa_uses_dynamic_stack 0
		.amdhsa_enable_private_segment 0
		.amdhsa_system_sgpr_workgroup_id_x 1
		.amdhsa_system_sgpr_workgroup_id_y 0
		.amdhsa_system_sgpr_workgroup_id_z 0
		.amdhsa_system_sgpr_workgroup_info 0
		.amdhsa_system_vgpr_workitem_id 0
		.amdhsa_next_free_vgpr 1
		.amdhsa_next_free_sgpr 1
		.amdhsa_named_barrier_count 0
		.amdhsa_reserve_vcc 0
		.amdhsa_float_round_mode_32 0
		.amdhsa_float_round_mode_16_64 0
		.amdhsa_float_denorm_mode_32 3
		.amdhsa_float_denorm_mode_16_64 3
		.amdhsa_fp16_overflow 0
		.amdhsa_memory_ordered 1
		.amdhsa_forward_progress 1
		.amdhsa_inst_pref_size 0
		.amdhsa_round_robin_scheduling 0
		.amdhsa_exception_fp_ieee_invalid_op 0
		.amdhsa_exception_fp_denorm_src 0
		.amdhsa_exception_fp_ieee_div_zero 0
		.amdhsa_exception_fp_ieee_overflow 0
		.amdhsa_exception_fp_ieee_underflow 0
		.amdhsa_exception_fp_ieee_inexact 0
		.amdhsa_exception_int_div_zero 0
	.end_amdhsa_kernel
	.section	.text._ZN7rocprim17ROCPRIM_400000_NS6detail17trampoline_kernelINS0_14default_configENS1_20scan_config_selectorIjEEZZNS1_9scan_implILNS1_25lookback_scan_determinismE0ELb1ELb1ES3_PjS8_jN6hipcub16HIPCUB_304000_NS3SumEjEEDaPvRmT3_T4_T5_mT6_P12ihipStream_tbENKUlT_T0_E_clISt17integral_constantIbLb1EESO_IbLb0EEEEDaSK_SL_EUlSK_E0_NS1_11comp_targetILNS1_3genE9ELNS1_11target_archE1100ELNS1_3gpuE3ELNS1_3repE0EEENS1_30default_config_static_selectorELNS0_4arch9wavefront6targetE0EEEvT1_,"axG",@progbits,_ZN7rocprim17ROCPRIM_400000_NS6detail17trampoline_kernelINS0_14default_configENS1_20scan_config_selectorIjEEZZNS1_9scan_implILNS1_25lookback_scan_determinismE0ELb1ELb1ES3_PjS8_jN6hipcub16HIPCUB_304000_NS3SumEjEEDaPvRmT3_T4_T5_mT6_P12ihipStream_tbENKUlT_T0_E_clISt17integral_constantIbLb1EESO_IbLb0EEEEDaSK_SL_EUlSK_E0_NS1_11comp_targetILNS1_3genE9ELNS1_11target_archE1100ELNS1_3gpuE3ELNS1_3repE0EEENS1_30default_config_static_selectorELNS0_4arch9wavefront6targetE0EEEvT1_,comdat
.Lfunc_end64:
	.size	_ZN7rocprim17ROCPRIM_400000_NS6detail17trampoline_kernelINS0_14default_configENS1_20scan_config_selectorIjEEZZNS1_9scan_implILNS1_25lookback_scan_determinismE0ELb1ELb1ES3_PjS8_jN6hipcub16HIPCUB_304000_NS3SumEjEEDaPvRmT3_T4_T5_mT6_P12ihipStream_tbENKUlT_T0_E_clISt17integral_constantIbLb1EESO_IbLb0EEEEDaSK_SL_EUlSK_E0_NS1_11comp_targetILNS1_3genE9ELNS1_11target_archE1100ELNS1_3gpuE3ELNS1_3repE0EEENS1_30default_config_static_selectorELNS0_4arch9wavefront6targetE0EEEvT1_, .Lfunc_end64-_ZN7rocprim17ROCPRIM_400000_NS6detail17trampoline_kernelINS0_14default_configENS1_20scan_config_selectorIjEEZZNS1_9scan_implILNS1_25lookback_scan_determinismE0ELb1ELb1ES3_PjS8_jN6hipcub16HIPCUB_304000_NS3SumEjEEDaPvRmT3_T4_T5_mT6_P12ihipStream_tbENKUlT_T0_E_clISt17integral_constantIbLb1EESO_IbLb0EEEEDaSK_SL_EUlSK_E0_NS1_11comp_targetILNS1_3genE9ELNS1_11target_archE1100ELNS1_3gpuE3ELNS1_3repE0EEENS1_30default_config_static_selectorELNS0_4arch9wavefront6targetE0EEEvT1_
                                        ; -- End function
	.set _ZN7rocprim17ROCPRIM_400000_NS6detail17trampoline_kernelINS0_14default_configENS1_20scan_config_selectorIjEEZZNS1_9scan_implILNS1_25lookback_scan_determinismE0ELb1ELb1ES3_PjS8_jN6hipcub16HIPCUB_304000_NS3SumEjEEDaPvRmT3_T4_T5_mT6_P12ihipStream_tbENKUlT_T0_E_clISt17integral_constantIbLb1EESO_IbLb0EEEEDaSK_SL_EUlSK_E0_NS1_11comp_targetILNS1_3genE9ELNS1_11target_archE1100ELNS1_3gpuE3ELNS1_3repE0EEENS1_30default_config_static_selectorELNS0_4arch9wavefront6targetE0EEEvT1_.num_vgpr, 0
	.set _ZN7rocprim17ROCPRIM_400000_NS6detail17trampoline_kernelINS0_14default_configENS1_20scan_config_selectorIjEEZZNS1_9scan_implILNS1_25lookback_scan_determinismE0ELb1ELb1ES3_PjS8_jN6hipcub16HIPCUB_304000_NS3SumEjEEDaPvRmT3_T4_T5_mT6_P12ihipStream_tbENKUlT_T0_E_clISt17integral_constantIbLb1EESO_IbLb0EEEEDaSK_SL_EUlSK_E0_NS1_11comp_targetILNS1_3genE9ELNS1_11target_archE1100ELNS1_3gpuE3ELNS1_3repE0EEENS1_30default_config_static_selectorELNS0_4arch9wavefront6targetE0EEEvT1_.num_agpr, 0
	.set _ZN7rocprim17ROCPRIM_400000_NS6detail17trampoline_kernelINS0_14default_configENS1_20scan_config_selectorIjEEZZNS1_9scan_implILNS1_25lookback_scan_determinismE0ELb1ELb1ES3_PjS8_jN6hipcub16HIPCUB_304000_NS3SumEjEEDaPvRmT3_T4_T5_mT6_P12ihipStream_tbENKUlT_T0_E_clISt17integral_constantIbLb1EESO_IbLb0EEEEDaSK_SL_EUlSK_E0_NS1_11comp_targetILNS1_3genE9ELNS1_11target_archE1100ELNS1_3gpuE3ELNS1_3repE0EEENS1_30default_config_static_selectorELNS0_4arch9wavefront6targetE0EEEvT1_.numbered_sgpr, 0
	.set _ZN7rocprim17ROCPRIM_400000_NS6detail17trampoline_kernelINS0_14default_configENS1_20scan_config_selectorIjEEZZNS1_9scan_implILNS1_25lookback_scan_determinismE0ELb1ELb1ES3_PjS8_jN6hipcub16HIPCUB_304000_NS3SumEjEEDaPvRmT3_T4_T5_mT6_P12ihipStream_tbENKUlT_T0_E_clISt17integral_constantIbLb1EESO_IbLb0EEEEDaSK_SL_EUlSK_E0_NS1_11comp_targetILNS1_3genE9ELNS1_11target_archE1100ELNS1_3gpuE3ELNS1_3repE0EEENS1_30default_config_static_selectorELNS0_4arch9wavefront6targetE0EEEvT1_.num_named_barrier, 0
	.set _ZN7rocprim17ROCPRIM_400000_NS6detail17trampoline_kernelINS0_14default_configENS1_20scan_config_selectorIjEEZZNS1_9scan_implILNS1_25lookback_scan_determinismE0ELb1ELb1ES3_PjS8_jN6hipcub16HIPCUB_304000_NS3SumEjEEDaPvRmT3_T4_T5_mT6_P12ihipStream_tbENKUlT_T0_E_clISt17integral_constantIbLb1EESO_IbLb0EEEEDaSK_SL_EUlSK_E0_NS1_11comp_targetILNS1_3genE9ELNS1_11target_archE1100ELNS1_3gpuE3ELNS1_3repE0EEENS1_30default_config_static_selectorELNS0_4arch9wavefront6targetE0EEEvT1_.private_seg_size, 0
	.set _ZN7rocprim17ROCPRIM_400000_NS6detail17trampoline_kernelINS0_14default_configENS1_20scan_config_selectorIjEEZZNS1_9scan_implILNS1_25lookback_scan_determinismE0ELb1ELb1ES3_PjS8_jN6hipcub16HIPCUB_304000_NS3SumEjEEDaPvRmT3_T4_T5_mT6_P12ihipStream_tbENKUlT_T0_E_clISt17integral_constantIbLb1EESO_IbLb0EEEEDaSK_SL_EUlSK_E0_NS1_11comp_targetILNS1_3genE9ELNS1_11target_archE1100ELNS1_3gpuE3ELNS1_3repE0EEENS1_30default_config_static_selectorELNS0_4arch9wavefront6targetE0EEEvT1_.uses_vcc, 0
	.set _ZN7rocprim17ROCPRIM_400000_NS6detail17trampoline_kernelINS0_14default_configENS1_20scan_config_selectorIjEEZZNS1_9scan_implILNS1_25lookback_scan_determinismE0ELb1ELb1ES3_PjS8_jN6hipcub16HIPCUB_304000_NS3SumEjEEDaPvRmT3_T4_T5_mT6_P12ihipStream_tbENKUlT_T0_E_clISt17integral_constantIbLb1EESO_IbLb0EEEEDaSK_SL_EUlSK_E0_NS1_11comp_targetILNS1_3genE9ELNS1_11target_archE1100ELNS1_3gpuE3ELNS1_3repE0EEENS1_30default_config_static_selectorELNS0_4arch9wavefront6targetE0EEEvT1_.uses_flat_scratch, 0
	.set _ZN7rocprim17ROCPRIM_400000_NS6detail17trampoline_kernelINS0_14default_configENS1_20scan_config_selectorIjEEZZNS1_9scan_implILNS1_25lookback_scan_determinismE0ELb1ELb1ES3_PjS8_jN6hipcub16HIPCUB_304000_NS3SumEjEEDaPvRmT3_T4_T5_mT6_P12ihipStream_tbENKUlT_T0_E_clISt17integral_constantIbLb1EESO_IbLb0EEEEDaSK_SL_EUlSK_E0_NS1_11comp_targetILNS1_3genE9ELNS1_11target_archE1100ELNS1_3gpuE3ELNS1_3repE0EEENS1_30default_config_static_selectorELNS0_4arch9wavefront6targetE0EEEvT1_.has_dyn_sized_stack, 0
	.set _ZN7rocprim17ROCPRIM_400000_NS6detail17trampoline_kernelINS0_14default_configENS1_20scan_config_selectorIjEEZZNS1_9scan_implILNS1_25lookback_scan_determinismE0ELb1ELb1ES3_PjS8_jN6hipcub16HIPCUB_304000_NS3SumEjEEDaPvRmT3_T4_T5_mT6_P12ihipStream_tbENKUlT_T0_E_clISt17integral_constantIbLb1EESO_IbLb0EEEEDaSK_SL_EUlSK_E0_NS1_11comp_targetILNS1_3genE9ELNS1_11target_archE1100ELNS1_3gpuE3ELNS1_3repE0EEENS1_30default_config_static_selectorELNS0_4arch9wavefront6targetE0EEEvT1_.has_recursion, 0
	.set _ZN7rocprim17ROCPRIM_400000_NS6detail17trampoline_kernelINS0_14default_configENS1_20scan_config_selectorIjEEZZNS1_9scan_implILNS1_25lookback_scan_determinismE0ELb1ELb1ES3_PjS8_jN6hipcub16HIPCUB_304000_NS3SumEjEEDaPvRmT3_T4_T5_mT6_P12ihipStream_tbENKUlT_T0_E_clISt17integral_constantIbLb1EESO_IbLb0EEEEDaSK_SL_EUlSK_E0_NS1_11comp_targetILNS1_3genE9ELNS1_11target_archE1100ELNS1_3gpuE3ELNS1_3repE0EEENS1_30default_config_static_selectorELNS0_4arch9wavefront6targetE0EEEvT1_.has_indirect_call, 0
	.section	.AMDGPU.csdata,"",@progbits
; Kernel info:
; codeLenInByte = 0
; TotalNumSgprs: 0
; NumVgprs: 0
; ScratchSize: 0
; MemoryBound: 0
; FloatMode: 240
; IeeeMode: 1
; LDSByteSize: 0 bytes/workgroup (compile time only)
; SGPRBlocks: 0
; VGPRBlocks: 0
; NumSGPRsForWavesPerEU: 1
; NumVGPRsForWavesPerEU: 1
; NamedBarCnt: 0
; Occupancy: 16
; WaveLimiterHint : 0
; COMPUTE_PGM_RSRC2:SCRATCH_EN: 0
; COMPUTE_PGM_RSRC2:USER_SGPR: 2
; COMPUTE_PGM_RSRC2:TRAP_HANDLER: 0
; COMPUTE_PGM_RSRC2:TGID_X_EN: 1
; COMPUTE_PGM_RSRC2:TGID_Y_EN: 0
; COMPUTE_PGM_RSRC2:TGID_Z_EN: 0
; COMPUTE_PGM_RSRC2:TIDIG_COMP_CNT: 0
	.section	.text._ZN7rocprim17ROCPRIM_400000_NS6detail17trampoline_kernelINS0_14default_configENS1_20scan_config_selectorIjEEZZNS1_9scan_implILNS1_25lookback_scan_determinismE0ELb1ELb1ES3_PjS8_jN6hipcub16HIPCUB_304000_NS3SumEjEEDaPvRmT3_T4_T5_mT6_P12ihipStream_tbENKUlT_T0_E_clISt17integral_constantIbLb1EESO_IbLb0EEEEDaSK_SL_EUlSK_E0_NS1_11comp_targetILNS1_3genE8ELNS1_11target_archE1030ELNS1_3gpuE2ELNS1_3repE0EEENS1_30default_config_static_selectorELNS0_4arch9wavefront6targetE0EEEvT1_,"axG",@progbits,_ZN7rocprim17ROCPRIM_400000_NS6detail17trampoline_kernelINS0_14default_configENS1_20scan_config_selectorIjEEZZNS1_9scan_implILNS1_25lookback_scan_determinismE0ELb1ELb1ES3_PjS8_jN6hipcub16HIPCUB_304000_NS3SumEjEEDaPvRmT3_T4_T5_mT6_P12ihipStream_tbENKUlT_T0_E_clISt17integral_constantIbLb1EESO_IbLb0EEEEDaSK_SL_EUlSK_E0_NS1_11comp_targetILNS1_3genE8ELNS1_11target_archE1030ELNS1_3gpuE2ELNS1_3repE0EEENS1_30default_config_static_selectorELNS0_4arch9wavefront6targetE0EEEvT1_,comdat
	.protected	_ZN7rocprim17ROCPRIM_400000_NS6detail17trampoline_kernelINS0_14default_configENS1_20scan_config_selectorIjEEZZNS1_9scan_implILNS1_25lookback_scan_determinismE0ELb1ELb1ES3_PjS8_jN6hipcub16HIPCUB_304000_NS3SumEjEEDaPvRmT3_T4_T5_mT6_P12ihipStream_tbENKUlT_T0_E_clISt17integral_constantIbLb1EESO_IbLb0EEEEDaSK_SL_EUlSK_E0_NS1_11comp_targetILNS1_3genE8ELNS1_11target_archE1030ELNS1_3gpuE2ELNS1_3repE0EEENS1_30default_config_static_selectorELNS0_4arch9wavefront6targetE0EEEvT1_ ; -- Begin function _ZN7rocprim17ROCPRIM_400000_NS6detail17trampoline_kernelINS0_14default_configENS1_20scan_config_selectorIjEEZZNS1_9scan_implILNS1_25lookback_scan_determinismE0ELb1ELb1ES3_PjS8_jN6hipcub16HIPCUB_304000_NS3SumEjEEDaPvRmT3_T4_T5_mT6_P12ihipStream_tbENKUlT_T0_E_clISt17integral_constantIbLb1EESO_IbLb0EEEEDaSK_SL_EUlSK_E0_NS1_11comp_targetILNS1_3genE8ELNS1_11target_archE1030ELNS1_3gpuE2ELNS1_3repE0EEENS1_30default_config_static_selectorELNS0_4arch9wavefront6targetE0EEEvT1_
	.globl	_ZN7rocprim17ROCPRIM_400000_NS6detail17trampoline_kernelINS0_14default_configENS1_20scan_config_selectorIjEEZZNS1_9scan_implILNS1_25lookback_scan_determinismE0ELb1ELb1ES3_PjS8_jN6hipcub16HIPCUB_304000_NS3SumEjEEDaPvRmT3_T4_T5_mT6_P12ihipStream_tbENKUlT_T0_E_clISt17integral_constantIbLb1EESO_IbLb0EEEEDaSK_SL_EUlSK_E0_NS1_11comp_targetILNS1_3genE8ELNS1_11target_archE1030ELNS1_3gpuE2ELNS1_3repE0EEENS1_30default_config_static_selectorELNS0_4arch9wavefront6targetE0EEEvT1_
	.p2align	8
	.type	_ZN7rocprim17ROCPRIM_400000_NS6detail17trampoline_kernelINS0_14default_configENS1_20scan_config_selectorIjEEZZNS1_9scan_implILNS1_25lookback_scan_determinismE0ELb1ELb1ES3_PjS8_jN6hipcub16HIPCUB_304000_NS3SumEjEEDaPvRmT3_T4_T5_mT6_P12ihipStream_tbENKUlT_T0_E_clISt17integral_constantIbLb1EESO_IbLb0EEEEDaSK_SL_EUlSK_E0_NS1_11comp_targetILNS1_3genE8ELNS1_11target_archE1030ELNS1_3gpuE2ELNS1_3repE0EEENS1_30default_config_static_selectorELNS0_4arch9wavefront6targetE0EEEvT1_,@function
_ZN7rocprim17ROCPRIM_400000_NS6detail17trampoline_kernelINS0_14default_configENS1_20scan_config_selectorIjEEZZNS1_9scan_implILNS1_25lookback_scan_determinismE0ELb1ELb1ES3_PjS8_jN6hipcub16HIPCUB_304000_NS3SumEjEEDaPvRmT3_T4_T5_mT6_P12ihipStream_tbENKUlT_T0_E_clISt17integral_constantIbLb1EESO_IbLb0EEEEDaSK_SL_EUlSK_E0_NS1_11comp_targetILNS1_3genE8ELNS1_11target_archE1030ELNS1_3gpuE2ELNS1_3repE0EEENS1_30default_config_static_selectorELNS0_4arch9wavefront6targetE0EEEvT1_: ; @_ZN7rocprim17ROCPRIM_400000_NS6detail17trampoline_kernelINS0_14default_configENS1_20scan_config_selectorIjEEZZNS1_9scan_implILNS1_25lookback_scan_determinismE0ELb1ELb1ES3_PjS8_jN6hipcub16HIPCUB_304000_NS3SumEjEEDaPvRmT3_T4_T5_mT6_P12ihipStream_tbENKUlT_T0_E_clISt17integral_constantIbLb1EESO_IbLb0EEEEDaSK_SL_EUlSK_E0_NS1_11comp_targetILNS1_3genE8ELNS1_11target_archE1030ELNS1_3gpuE2ELNS1_3repE0EEENS1_30default_config_static_selectorELNS0_4arch9wavefront6targetE0EEEvT1_
; %bb.0:
	.section	.rodata,"a",@progbits
	.p2align	6, 0x0
	.amdhsa_kernel _ZN7rocprim17ROCPRIM_400000_NS6detail17trampoline_kernelINS0_14default_configENS1_20scan_config_selectorIjEEZZNS1_9scan_implILNS1_25lookback_scan_determinismE0ELb1ELb1ES3_PjS8_jN6hipcub16HIPCUB_304000_NS3SumEjEEDaPvRmT3_T4_T5_mT6_P12ihipStream_tbENKUlT_T0_E_clISt17integral_constantIbLb1EESO_IbLb0EEEEDaSK_SL_EUlSK_E0_NS1_11comp_targetILNS1_3genE8ELNS1_11target_archE1030ELNS1_3gpuE2ELNS1_3repE0EEENS1_30default_config_static_selectorELNS0_4arch9wavefront6targetE0EEEvT1_
		.amdhsa_group_segment_fixed_size 0
		.amdhsa_private_segment_fixed_size 0
		.amdhsa_kernarg_size 32
		.amdhsa_user_sgpr_count 2
		.amdhsa_user_sgpr_dispatch_ptr 0
		.amdhsa_user_sgpr_queue_ptr 0
		.amdhsa_user_sgpr_kernarg_segment_ptr 1
		.amdhsa_user_sgpr_dispatch_id 0
		.amdhsa_user_sgpr_kernarg_preload_length 0
		.amdhsa_user_sgpr_kernarg_preload_offset 0
		.amdhsa_user_sgpr_private_segment_size 0
		.amdhsa_wavefront_size32 1
		.amdhsa_uses_dynamic_stack 0
		.amdhsa_enable_private_segment 0
		.amdhsa_system_sgpr_workgroup_id_x 1
		.amdhsa_system_sgpr_workgroup_id_y 0
		.amdhsa_system_sgpr_workgroup_id_z 0
		.amdhsa_system_sgpr_workgroup_info 0
		.amdhsa_system_vgpr_workitem_id 0
		.amdhsa_next_free_vgpr 1
		.amdhsa_next_free_sgpr 1
		.amdhsa_named_barrier_count 0
		.amdhsa_reserve_vcc 0
		.amdhsa_float_round_mode_32 0
		.amdhsa_float_round_mode_16_64 0
		.amdhsa_float_denorm_mode_32 3
		.amdhsa_float_denorm_mode_16_64 3
		.amdhsa_fp16_overflow 0
		.amdhsa_memory_ordered 1
		.amdhsa_forward_progress 1
		.amdhsa_inst_pref_size 0
		.amdhsa_round_robin_scheduling 0
		.amdhsa_exception_fp_ieee_invalid_op 0
		.amdhsa_exception_fp_denorm_src 0
		.amdhsa_exception_fp_ieee_div_zero 0
		.amdhsa_exception_fp_ieee_overflow 0
		.amdhsa_exception_fp_ieee_underflow 0
		.amdhsa_exception_fp_ieee_inexact 0
		.amdhsa_exception_int_div_zero 0
	.end_amdhsa_kernel
	.section	.text._ZN7rocprim17ROCPRIM_400000_NS6detail17trampoline_kernelINS0_14default_configENS1_20scan_config_selectorIjEEZZNS1_9scan_implILNS1_25lookback_scan_determinismE0ELb1ELb1ES3_PjS8_jN6hipcub16HIPCUB_304000_NS3SumEjEEDaPvRmT3_T4_T5_mT6_P12ihipStream_tbENKUlT_T0_E_clISt17integral_constantIbLb1EESO_IbLb0EEEEDaSK_SL_EUlSK_E0_NS1_11comp_targetILNS1_3genE8ELNS1_11target_archE1030ELNS1_3gpuE2ELNS1_3repE0EEENS1_30default_config_static_selectorELNS0_4arch9wavefront6targetE0EEEvT1_,"axG",@progbits,_ZN7rocprim17ROCPRIM_400000_NS6detail17trampoline_kernelINS0_14default_configENS1_20scan_config_selectorIjEEZZNS1_9scan_implILNS1_25lookback_scan_determinismE0ELb1ELb1ES3_PjS8_jN6hipcub16HIPCUB_304000_NS3SumEjEEDaPvRmT3_T4_T5_mT6_P12ihipStream_tbENKUlT_T0_E_clISt17integral_constantIbLb1EESO_IbLb0EEEEDaSK_SL_EUlSK_E0_NS1_11comp_targetILNS1_3genE8ELNS1_11target_archE1030ELNS1_3gpuE2ELNS1_3repE0EEENS1_30default_config_static_selectorELNS0_4arch9wavefront6targetE0EEEvT1_,comdat
.Lfunc_end65:
	.size	_ZN7rocprim17ROCPRIM_400000_NS6detail17trampoline_kernelINS0_14default_configENS1_20scan_config_selectorIjEEZZNS1_9scan_implILNS1_25lookback_scan_determinismE0ELb1ELb1ES3_PjS8_jN6hipcub16HIPCUB_304000_NS3SumEjEEDaPvRmT3_T4_T5_mT6_P12ihipStream_tbENKUlT_T0_E_clISt17integral_constantIbLb1EESO_IbLb0EEEEDaSK_SL_EUlSK_E0_NS1_11comp_targetILNS1_3genE8ELNS1_11target_archE1030ELNS1_3gpuE2ELNS1_3repE0EEENS1_30default_config_static_selectorELNS0_4arch9wavefront6targetE0EEEvT1_, .Lfunc_end65-_ZN7rocprim17ROCPRIM_400000_NS6detail17trampoline_kernelINS0_14default_configENS1_20scan_config_selectorIjEEZZNS1_9scan_implILNS1_25lookback_scan_determinismE0ELb1ELb1ES3_PjS8_jN6hipcub16HIPCUB_304000_NS3SumEjEEDaPvRmT3_T4_T5_mT6_P12ihipStream_tbENKUlT_T0_E_clISt17integral_constantIbLb1EESO_IbLb0EEEEDaSK_SL_EUlSK_E0_NS1_11comp_targetILNS1_3genE8ELNS1_11target_archE1030ELNS1_3gpuE2ELNS1_3repE0EEENS1_30default_config_static_selectorELNS0_4arch9wavefront6targetE0EEEvT1_
                                        ; -- End function
	.set _ZN7rocprim17ROCPRIM_400000_NS6detail17trampoline_kernelINS0_14default_configENS1_20scan_config_selectorIjEEZZNS1_9scan_implILNS1_25lookback_scan_determinismE0ELb1ELb1ES3_PjS8_jN6hipcub16HIPCUB_304000_NS3SumEjEEDaPvRmT3_T4_T5_mT6_P12ihipStream_tbENKUlT_T0_E_clISt17integral_constantIbLb1EESO_IbLb0EEEEDaSK_SL_EUlSK_E0_NS1_11comp_targetILNS1_3genE8ELNS1_11target_archE1030ELNS1_3gpuE2ELNS1_3repE0EEENS1_30default_config_static_selectorELNS0_4arch9wavefront6targetE0EEEvT1_.num_vgpr, 0
	.set _ZN7rocprim17ROCPRIM_400000_NS6detail17trampoline_kernelINS0_14default_configENS1_20scan_config_selectorIjEEZZNS1_9scan_implILNS1_25lookback_scan_determinismE0ELb1ELb1ES3_PjS8_jN6hipcub16HIPCUB_304000_NS3SumEjEEDaPvRmT3_T4_T5_mT6_P12ihipStream_tbENKUlT_T0_E_clISt17integral_constantIbLb1EESO_IbLb0EEEEDaSK_SL_EUlSK_E0_NS1_11comp_targetILNS1_3genE8ELNS1_11target_archE1030ELNS1_3gpuE2ELNS1_3repE0EEENS1_30default_config_static_selectorELNS0_4arch9wavefront6targetE0EEEvT1_.num_agpr, 0
	.set _ZN7rocprim17ROCPRIM_400000_NS6detail17trampoline_kernelINS0_14default_configENS1_20scan_config_selectorIjEEZZNS1_9scan_implILNS1_25lookback_scan_determinismE0ELb1ELb1ES3_PjS8_jN6hipcub16HIPCUB_304000_NS3SumEjEEDaPvRmT3_T4_T5_mT6_P12ihipStream_tbENKUlT_T0_E_clISt17integral_constantIbLb1EESO_IbLb0EEEEDaSK_SL_EUlSK_E0_NS1_11comp_targetILNS1_3genE8ELNS1_11target_archE1030ELNS1_3gpuE2ELNS1_3repE0EEENS1_30default_config_static_selectorELNS0_4arch9wavefront6targetE0EEEvT1_.numbered_sgpr, 0
	.set _ZN7rocprim17ROCPRIM_400000_NS6detail17trampoline_kernelINS0_14default_configENS1_20scan_config_selectorIjEEZZNS1_9scan_implILNS1_25lookback_scan_determinismE0ELb1ELb1ES3_PjS8_jN6hipcub16HIPCUB_304000_NS3SumEjEEDaPvRmT3_T4_T5_mT6_P12ihipStream_tbENKUlT_T0_E_clISt17integral_constantIbLb1EESO_IbLb0EEEEDaSK_SL_EUlSK_E0_NS1_11comp_targetILNS1_3genE8ELNS1_11target_archE1030ELNS1_3gpuE2ELNS1_3repE0EEENS1_30default_config_static_selectorELNS0_4arch9wavefront6targetE0EEEvT1_.num_named_barrier, 0
	.set _ZN7rocprim17ROCPRIM_400000_NS6detail17trampoline_kernelINS0_14default_configENS1_20scan_config_selectorIjEEZZNS1_9scan_implILNS1_25lookback_scan_determinismE0ELb1ELb1ES3_PjS8_jN6hipcub16HIPCUB_304000_NS3SumEjEEDaPvRmT3_T4_T5_mT6_P12ihipStream_tbENKUlT_T0_E_clISt17integral_constantIbLb1EESO_IbLb0EEEEDaSK_SL_EUlSK_E0_NS1_11comp_targetILNS1_3genE8ELNS1_11target_archE1030ELNS1_3gpuE2ELNS1_3repE0EEENS1_30default_config_static_selectorELNS0_4arch9wavefront6targetE0EEEvT1_.private_seg_size, 0
	.set _ZN7rocprim17ROCPRIM_400000_NS6detail17trampoline_kernelINS0_14default_configENS1_20scan_config_selectorIjEEZZNS1_9scan_implILNS1_25lookback_scan_determinismE0ELb1ELb1ES3_PjS8_jN6hipcub16HIPCUB_304000_NS3SumEjEEDaPvRmT3_T4_T5_mT6_P12ihipStream_tbENKUlT_T0_E_clISt17integral_constantIbLb1EESO_IbLb0EEEEDaSK_SL_EUlSK_E0_NS1_11comp_targetILNS1_3genE8ELNS1_11target_archE1030ELNS1_3gpuE2ELNS1_3repE0EEENS1_30default_config_static_selectorELNS0_4arch9wavefront6targetE0EEEvT1_.uses_vcc, 0
	.set _ZN7rocprim17ROCPRIM_400000_NS6detail17trampoline_kernelINS0_14default_configENS1_20scan_config_selectorIjEEZZNS1_9scan_implILNS1_25lookback_scan_determinismE0ELb1ELb1ES3_PjS8_jN6hipcub16HIPCUB_304000_NS3SumEjEEDaPvRmT3_T4_T5_mT6_P12ihipStream_tbENKUlT_T0_E_clISt17integral_constantIbLb1EESO_IbLb0EEEEDaSK_SL_EUlSK_E0_NS1_11comp_targetILNS1_3genE8ELNS1_11target_archE1030ELNS1_3gpuE2ELNS1_3repE0EEENS1_30default_config_static_selectorELNS0_4arch9wavefront6targetE0EEEvT1_.uses_flat_scratch, 0
	.set _ZN7rocprim17ROCPRIM_400000_NS6detail17trampoline_kernelINS0_14default_configENS1_20scan_config_selectorIjEEZZNS1_9scan_implILNS1_25lookback_scan_determinismE0ELb1ELb1ES3_PjS8_jN6hipcub16HIPCUB_304000_NS3SumEjEEDaPvRmT3_T4_T5_mT6_P12ihipStream_tbENKUlT_T0_E_clISt17integral_constantIbLb1EESO_IbLb0EEEEDaSK_SL_EUlSK_E0_NS1_11comp_targetILNS1_3genE8ELNS1_11target_archE1030ELNS1_3gpuE2ELNS1_3repE0EEENS1_30default_config_static_selectorELNS0_4arch9wavefront6targetE0EEEvT1_.has_dyn_sized_stack, 0
	.set _ZN7rocprim17ROCPRIM_400000_NS6detail17trampoline_kernelINS0_14default_configENS1_20scan_config_selectorIjEEZZNS1_9scan_implILNS1_25lookback_scan_determinismE0ELb1ELb1ES3_PjS8_jN6hipcub16HIPCUB_304000_NS3SumEjEEDaPvRmT3_T4_T5_mT6_P12ihipStream_tbENKUlT_T0_E_clISt17integral_constantIbLb1EESO_IbLb0EEEEDaSK_SL_EUlSK_E0_NS1_11comp_targetILNS1_3genE8ELNS1_11target_archE1030ELNS1_3gpuE2ELNS1_3repE0EEENS1_30default_config_static_selectorELNS0_4arch9wavefront6targetE0EEEvT1_.has_recursion, 0
	.set _ZN7rocprim17ROCPRIM_400000_NS6detail17trampoline_kernelINS0_14default_configENS1_20scan_config_selectorIjEEZZNS1_9scan_implILNS1_25lookback_scan_determinismE0ELb1ELb1ES3_PjS8_jN6hipcub16HIPCUB_304000_NS3SumEjEEDaPvRmT3_T4_T5_mT6_P12ihipStream_tbENKUlT_T0_E_clISt17integral_constantIbLb1EESO_IbLb0EEEEDaSK_SL_EUlSK_E0_NS1_11comp_targetILNS1_3genE8ELNS1_11target_archE1030ELNS1_3gpuE2ELNS1_3repE0EEENS1_30default_config_static_selectorELNS0_4arch9wavefront6targetE0EEEvT1_.has_indirect_call, 0
	.section	.AMDGPU.csdata,"",@progbits
; Kernel info:
; codeLenInByte = 0
; TotalNumSgprs: 0
; NumVgprs: 0
; ScratchSize: 0
; MemoryBound: 0
; FloatMode: 240
; IeeeMode: 1
; LDSByteSize: 0 bytes/workgroup (compile time only)
; SGPRBlocks: 0
; VGPRBlocks: 0
; NumSGPRsForWavesPerEU: 1
; NumVGPRsForWavesPerEU: 1
; NamedBarCnt: 0
; Occupancy: 16
; WaveLimiterHint : 0
; COMPUTE_PGM_RSRC2:SCRATCH_EN: 0
; COMPUTE_PGM_RSRC2:USER_SGPR: 2
; COMPUTE_PGM_RSRC2:TRAP_HANDLER: 0
; COMPUTE_PGM_RSRC2:TGID_X_EN: 1
; COMPUTE_PGM_RSRC2:TGID_Y_EN: 0
; COMPUTE_PGM_RSRC2:TGID_Z_EN: 0
; COMPUTE_PGM_RSRC2:TIDIG_COMP_CNT: 0
	.section	.text._ZN7rocprim17ROCPRIM_400000_NS6detail31init_lookback_scan_state_kernelINS1_19lookback_scan_stateIjLb0ELb1EEENS1_16block_id_wrapperIjLb1EEEEEvT_jT0_jPNS7_10value_typeE,"axG",@progbits,_ZN7rocprim17ROCPRIM_400000_NS6detail31init_lookback_scan_state_kernelINS1_19lookback_scan_stateIjLb0ELb1EEENS1_16block_id_wrapperIjLb1EEEEEvT_jT0_jPNS7_10value_typeE,comdat
	.protected	_ZN7rocprim17ROCPRIM_400000_NS6detail31init_lookback_scan_state_kernelINS1_19lookback_scan_stateIjLb0ELb1EEENS1_16block_id_wrapperIjLb1EEEEEvT_jT0_jPNS7_10value_typeE ; -- Begin function _ZN7rocprim17ROCPRIM_400000_NS6detail31init_lookback_scan_state_kernelINS1_19lookback_scan_stateIjLb0ELb1EEENS1_16block_id_wrapperIjLb1EEEEEvT_jT0_jPNS7_10value_typeE
	.globl	_ZN7rocprim17ROCPRIM_400000_NS6detail31init_lookback_scan_state_kernelINS1_19lookback_scan_stateIjLb0ELb1EEENS1_16block_id_wrapperIjLb1EEEEEvT_jT0_jPNS7_10value_typeE
	.p2align	8
	.type	_ZN7rocprim17ROCPRIM_400000_NS6detail31init_lookback_scan_state_kernelINS1_19lookback_scan_stateIjLb0ELb1EEENS1_16block_id_wrapperIjLb1EEEEEvT_jT0_jPNS7_10value_typeE,@function
_ZN7rocprim17ROCPRIM_400000_NS6detail31init_lookback_scan_state_kernelINS1_19lookback_scan_stateIjLb0ELb1EEENS1_16block_id_wrapperIjLb1EEEEEvT_jT0_jPNS7_10value_typeE: ; @_ZN7rocprim17ROCPRIM_400000_NS6detail31init_lookback_scan_state_kernelINS1_19lookback_scan_stateIjLb0ELb1EEENS1_16block_id_wrapperIjLb1EEEEEvT_jT0_jPNS7_10value_typeE
; %bb.0:
	s_clause 0x2
	s_load_b32 s7, s[0:1], 0x34
	s_load_b96 s[4:6], s[0:1], 0x0
	s_load_b64 s[2:3], s[0:1], 0x20
	s_bfe_u32 s8, ttmp6, 0x4000c
	s_and_b32 s9, ttmp6, 15
	s_add_co_i32 s8, s8, 1
	s_getreg_b32 s10, hwreg(HW_REG_IB_STS2, 6, 4)
	s_mul_i32 s8, ttmp9, s8
	s_delay_alu instid0(SALU_CYCLE_1)
	s_add_co_i32 s9, s9, s8
	s_wait_kmcnt 0x0
	s_and_b32 s7, s7, 0xffff
	s_cmp_eq_u32 s10, 0
	s_cselect_b32 s8, ttmp9, s9
	s_cmp_eq_u64 s[2:3], 0
	v_mad_u32 v4, s8, s7, v0
	s_cbranch_scc1 .LBB66_7
; %bb.1:
	s_load_b32 s8, s[0:1], 0x18
	s_wait_kmcnt 0x0
	s_cmp_lt_u32 s8, s6
	s_cselect_b32 s7, s8, 0
	s_delay_alu instid0(VALU_DEP_1) | instid1(SALU_CYCLE_1)
	v_cmp_eq_u32_e32 vcc_lo, s7, v4
	s_and_saveexec_b32 s7, vcc_lo
	s_cbranch_execz .LBB66_6
; %bb.2:
	s_add_co_i32 s8, s8, 32
	s_delay_alu instid0(SALU_CYCLE_1) | instskip(SKIP_3) | instid1(VALU_DEP_1)
	v_dual_mov_b32 v2, 0 :: v_dual_mov_b32 v0, s8
	global_load_b64 v[0:1], v0, s[4:5] scale_offset scope:SCOPE_DEV
	s_wait_loadcnt 0x0
	v_and_b32_e32 v3, 0xff, v1
	v_cmp_ne_u64_e32 vcc_lo, 0, v[2:3]
	s_cbranch_vccnz .LBB66_5
; %bb.3:
	s_mov_b32 s9, 0
	s_delay_alu instid0(SALU_CYCLE_1) | instskip(NEXT) | instid1(SALU_CYCLE_1)
	s_lshl_b64 s[8:9], s[8:9], 3
	s_add_nc_u64 s[8:9], s[4:5], s[8:9]
.LBB66_4:                               ; =>This Inner Loop Header: Depth=1
	global_load_b64 v[0:1], v2, s[8:9] scope:SCOPE_DEV
	s_wait_loadcnt 0x0
	v_and_b32_e32 v3, 0xff, v1
	s_delay_alu instid0(VALU_DEP_1)
	v_cmp_eq_u64_e32 vcc_lo, 0, v[2:3]
	s_cbranch_vccnz .LBB66_4
.LBB66_5:
	v_mov_b32_e32 v1, 0
	global_store_b32 v1, v0, s[2:3]
.LBB66_6:
	s_wait_xcnt 0x0
	s_or_b32 exec_lo, exec_lo, s7
.LBB66_7:
	s_delay_alu instid0(SALU_CYCLE_1) | instskip(NEXT) | instid1(VALU_DEP_1)
	s_mov_b32 s2, exec_lo
	v_cmpx_eq_u32_e32 0, v4
	s_cbranch_execz .LBB66_9
; %bb.8:
	s_load_b64 s[0:1], s[0:1], 0x10
	v_mov_b32_e32 v0, 0
	s_wait_kmcnt 0x0
	global_store_b32 v0, v0, s[0:1]
.LBB66_9:
	s_wait_xcnt 0x0
	s_or_b32 exec_lo, exec_lo, s2
	s_delay_alu instid0(SALU_CYCLE_1)
	s_mov_b32 s0, exec_lo
	v_cmpx_gt_u32_e64 s6, v4
	s_cbranch_execz .LBB66_11
; %bb.10:
	v_mov_b64_e32 v[0:1], 0
	v_add_nc_u32_e32 v2, 32, v4
	global_store_b64 v2, v[0:1], s[4:5] scale_offset
.LBB66_11:
	s_wait_xcnt 0x0
	s_or_b32 exec_lo, exec_lo, s0
	s_delay_alu instid0(SALU_CYCLE_1)
	s_mov_b32 s0, exec_lo
	v_cmpx_gt_u32_e32 32, v4
	s_cbranch_execz .LBB66_13
; %bb.12:
	v_mov_b64_e32 v[0:1], 0xff00000000
	global_store_b64 v4, v[0:1], s[4:5] scale_offset
.LBB66_13:
	s_endpgm
	.section	.rodata,"a",@progbits
	.p2align	6, 0x0
	.amdhsa_kernel _ZN7rocprim17ROCPRIM_400000_NS6detail31init_lookback_scan_state_kernelINS1_19lookback_scan_stateIjLb0ELb1EEENS1_16block_id_wrapperIjLb1EEEEEvT_jT0_jPNS7_10value_typeE
		.amdhsa_group_segment_fixed_size 0
		.amdhsa_private_segment_fixed_size 0
		.amdhsa_kernarg_size 296
		.amdhsa_user_sgpr_count 2
		.amdhsa_user_sgpr_dispatch_ptr 0
		.amdhsa_user_sgpr_queue_ptr 0
		.amdhsa_user_sgpr_kernarg_segment_ptr 1
		.amdhsa_user_sgpr_dispatch_id 0
		.amdhsa_user_sgpr_kernarg_preload_length 0
		.amdhsa_user_sgpr_kernarg_preload_offset 0
		.amdhsa_user_sgpr_private_segment_size 0
		.amdhsa_wavefront_size32 1
		.amdhsa_uses_dynamic_stack 0
		.amdhsa_enable_private_segment 0
		.amdhsa_system_sgpr_workgroup_id_x 1
		.amdhsa_system_sgpr_workgroup_id_y 0
		.amdhsa_system_sgpr_workgroup_id_z 0
		.amdhsa_system_sgpr_workgroup_info 0
		.amdhsa_system_vgpr_workitem_id 0
		.amdhsa_next_free_vgpr 5
		.amdhsa_next_free_sgpr 11
		.amdhsa_named_barrier_count 0
		.amdhsa_reserve_vcc 1
		.amdhsa_float_round_mode_32 0
		.amdhsa_float_round_mode_16_64 0
		.amdhsa_float_denorm_mode_32 3
		.amdhsa_float_denorm_mode_16_64 3
		.amdhsa_fp16_overflow 0
		.amdhsa_memory_ordered 1
		.amdhsa_forward_progress 1
		.amdhsa_inst_pref_size 4
		.amdhsa_round_robin_scheduling 0
		.amdhsa_exception_fp_ieee_invalid_op 0
		.amdhsa_exception_fp_denorm_src 0
		.amdhsa_exception_fp_ieee_div_zero 0
		.amdhsa_exception_fp_ieee_overflow 0
		.amdhsa_exception_fp_ieee_underflow 0
		.amdhsa_exception_fp_ieee_inexact 0
		.amdhsa_exception_int_div_zero 0
	.end_amdhsa_kernel
	.section	.text._ZN7rocprim17ROCPRIM_400000_NS6detail31init_lookback_scan_state_kernelINS1_19lookback_scan_stateIjLb0ELb1EEENS1_16block_id_wrapperIjLb1EEEEEvT_jT0_jPNS7_10value_typeE,"axG",@progbits,_ZN7rocprim17ROCPRIM_400000_NS6detail31init_lookback_scan_state_kernelINS1_19lookback_scan_stateIjLb0ELb1EEENS1_16block_id_wrapperIjLb1EEEEEvT_jT0_jPNS7_10value_typeE,comdat
.Lfunc_end66:
	.size	_ZN7rocprim17ROCPRIM_400000_NS6detail31init_lookback_scan_state_kernelINS1_19lookback_scan_stateIjLb0ELb1EEENS1_16block_id_wrapperIjLb1EEEEEvT_jT0_jPNS7_10value_typeE, .Lfunc_end66-_ZN7rocprim17ROCPRIM_400000_NS6detail31init_lookback_scan_state_kernelINS1_19lookback_scan_stateIjLb0ELb1EEENS1_16block_id_wrapperIjLb1EEEEEvT_jT0_jPNS7_10value_typeE
                                        ; -- End function
	.set _ZN7rocprim17ROCPRIM_400000_NS6detail31init_lookback_scan_state_kernelINS1_19lookback_scan_stateIjLb0ELb1EEENS1_16block_id_wrapperIjLb1EEEEEvT_jT0_jPNS7_10value_typeE.num_vgpr, 5
	.set _ZN7rocprim17ROCPRIM_400000_NS6detail31init_lookback_scan_state_kernelINS1_19lookback_scan_stateIjLb0ELb1EEENS1_16block_id_wrapperIjLb1EEEEEvT_jT0_jPNS7_10value_typeE.num_agpr, 0
	.set _ZN7rocprim17ROCPRIM_400000_NS6detail31init_lookback_scan_state_kernelINS1_19lookback_scan_stateIjLb0ELb1EEENS1_16block_id_wrapperIjLb1EEEEEvT_jT0_jPNS7_10value_typeE.numbered_sgpr, 11
	.set _ZN7rocprim17ROCPRIM_400000_NS6detail31init_lookback_scan_state_kernelINS1_19lookback_scan_stateIjLb0ELb1EEENS1_16block_id_wrapperIjLb1EEEEEvT_jT0_jPNS7_10value_typeE.num_named_barrier, 0
	.set _ZN7rocprim17ROCPRIM_400000_NS6detail31init_lookback_scan_state_kernelINS1_19lookback_scan_stateIjLb0ELb1EEENS1_16block_id_wrapperIjLb1EEEEEvT_jT0_jPNS7_10value_typeE.private_seg_size, 0
	.set _ZN7rocprim17ROCPRIM_400000_NS6detail31init_lookback_scan_state_kernelINS1_19lookback_scan_stateIjLb0ELb1EEENS1_16block_id_wrapperIjLb1EEEEEvT_jT0_jPNS7_10value_typeE.uses_vcc, 1
	.set _ZN7rocprim17ROCPRIM_400000_NS6detail31init_lookback_scan_state_kernelINS1_19lookback_scan_stateIjLb0ELb1EEENS1_16block_id_wrapperIjLb1EEEEEvT_jT0_jPNS7_10value_typeE.uses_flat_scratch, 0
	.set _ZN7rocprim17ROCPRIM_400000_NS6detail31init_lookback_scan_state_kernelINS1_19lookback_scan_stateIjLb0ELb1EEENS1_16block_id_wrapperIjLb1EEEEEvT_jT0_jPNS7_10value_typeE.has_dyn_sized_stack, 0
	.set _ZN7rocprim17ROCPRIM_400000_NS6detail31init_lookback_scan_state_kernelINS1_19lookback_scan_stateIjLb0ELb1EEENS1_16block_id_wrapperIjLb1EEEEEvT_jT0_jPNS7_10value_typeE.has_recursion, 0
	.set _ZN7rocprim17ROCPRIM_400000_NS6detail31init_lookback_scan_state_kernelINS1_19lookback_scan_stateIjLb0ELb1EEENS1_16block_id_wrapperIjLb1EEEEEvT_jT0_jPNS7_10value_typeE.has_indirect_call, 0
	.section	.AMDGPU.csdata,"",@progbits
; Kernel info:
; codeLenInByte = 404
; TotalNumSgprs: 13
; NumVgprs: 5
; ScratchSize: 0
; MemoryBound: 0
; FloatMode: 240
; IeeeMode: 1
; LDSByteSize: 0 bytes/workgroup (compile time only)
; SGPRBlocks: 0
; VGPRBlocks: 0
; NumSGPRsForWavesPerEU: 13
; NumVGPRsForWavesPerEU: 5
; NamedBarCnt: 0
; Occupancy: 16
; WaveLimiterHint : 0
; COMPUTE_PGM_RSRC2:SCRATCH_EN: 0
; COMPUTE_PGM_RSRC2:USER_SGPR: 2
; COMPUTE_PGM_RSRC2:TRAP_HANDLER: 0
; COMPUTE_PGM_RSRC2:TGID_X_EN: 1
; COMPUTE_PGM_RSRC2:TGID_Y_EN: 0
; COMPUTE_PGM_RSRC2:TGID_Z_EN: 0
; COMPUTE_PGM_RSRC2:TIDIG_COMP_CNT: 0
	.section	.text._ZN7rocprim17ROCPRIM_400000_NS6detail17trampoline_kernelINS0_14default_configENS1_20scan_config_selectorIjEEZZNS1_9scan_implILNS1_25lookback_scan_determinismE0ELb1ELb1ES3_PjS8_jN6hipcub16HIPCUB_304000_NS3SumEjEEDaPvRmT3_T4_T5_mT6_P12ihipStream_tbENKUlT_T0_E_clISt17integral_constantIbLb0EESO_IbLb1EEEEDaSK_SL_EUlSK_E_NS1_11comp_targetILNS1_3genE0ELNS1_11target_archE4294967295ELNS1_3gpuE0ELNS1_3repE0EEENS1_30default_config_static_selectorELNS0_4arch9wavefront6targetE0EEEvT1_,"axG",@progbits,_ZN7rocprim17ROCPRIM_400000_NS6detail17trampoline_kernelINS0_14default_configENS1_20scan_config_selectorIjEEZZNS1_9scan_implILNS1_25lookback_scan_determinismE0ELb1ELb1ES3_PjS8_jN6hipcub16HIPCUB_304000_NS3SumEjEEDaPvRmT3_T4_T5_mT6_P12ihipStream_tbENKUlT_T0_E_clISt17integral_constantIbLb0EESO_IbLb1EEEEDaSK_SL_EUlSK_E_NS1_11comp_targetILNS1_3genE0ELNS1_11target_archE4294967295ELNS1_3gpuE0ELNS1_3repE0EEENS1_30default_config_static_selectorELNS0_4arch9wavefront6targetE0EEEvT1_,comdat
	.protected	_ZN7rocprim17ROCPRIM_400000_NS6detail17trampoline_kernelINS0_14default_configENS1_20scan_config_selectorIjEEZZNS1_9scan_implILNS1_25lookback_scan_determinismE0ELb1ELb1ES3_PjS8_jN6hipcub16HIPCUB_304000_NS3SumEjEEDaPvRmT3_T4_T5_mT6_P12ihipStream_tbENKUlT_T0_E_clISt17integral_constantIbLb0EESO_IbLb1EEEEDaSK_SL_EUlSK_E_NS1_11comp_targetILNS1_3genE0ELNS1_11target_archE4294967295ELNS1_3gpuE0ELNS1_3repE0EEENS1_30default_config_static_selectorELNS0_4arch9wavefront6targetE0EEEvT1_ ; -- Begin function _ZN7rocprim17ROCPRIM_400000_NS6detail17trampoline_kernelINS0_14default_configENS1_20scan_config_selectorIjEEZZNS1_9scan_implILNS1_25lookback_scan_determinismE0ELb1ELb1ES3_PjS8_jN6hipcub16HIPCUB_304000_NS3SumEjEEDaPvRmT3_T4_T5_mT6_P12ihipStream_tbENKUlT_T0_E_clISt17integral_constantIbLb0EESO_IbLb1EEEEDaSK_SL_EUlSK_E_NS1_11comp_targetILNS1_3genE0ELNS1_11target_archE4294967295ELNS1_3gpuE0ELNS1_3repE0EEENS1_30default_config_static_selectorELNS0_4arch9wavefront6targetE0EEEvT1_
	.globl	_ZN7rocprim17ROCPRIM_400000_NS6detail17trampoline_kernelINS0_14default_configENS1_20scan_config_selectorIjEEZZNS1_9scan_implILNS1_25lookback_scan_determinismE0ELb1ELb1ES3_PjS8_jN6hipcub16HIPCUB_304000_NS3SumEjEEDaPvRmT3_T4_T5_mT6_P12ihipStream_tbENKUlT_T0_E_clISt17integral_constantIbLb0EESO_IbLb1EEEEDaSK_SL_EUlSK_E_NS1_11comp_targetILNS1_3genE0ELNS1_11target_archE4294967295ELNS1_3gpuE0ELNS1_3repE0EEENS1_30default_config_static_selectorELNS0_4arch9wavefront6targetE0EEEvT1_
	.p2align	8
	.type	_ZN7rocprim17ROCPRIM_400000_NS6detail17trampoline_kernelINS0_14default_configENS1_20scan_config_selectorIjEEZZNS1_9scan_implILNS1_25lookback_scan_determinismE0ELb1ELb1ES3_PjS8_jN6hipcub16HIPCUB_304000_NS3SumEjEEDaPvRmT3_T4_T5_mT6_P12ihipStream_tbENKUlT_T0_E_clISt17integral_constantIbLb0EESO_IbLb1EEEEDaSK_SL_EUlSK_E_NS1_11comp_targetILNS1_3genE0ELNS1_11target_archE4294967295ELNS1_3gpuE0ELNS1_3repE0EEENS1_30default_config_static_selectorELNS0_4arch9wavefront6targetE0EEEvT1_,@function
_ZN7rocprim17ROCPRIM_400000_NS6detail17trampoline_kernelINS0_14default_configENS1_20scan_config_selectorIjEEZZNS1_9scan_implILNS1_25lookback_scan_determinismE0ELb1ELb1ES3_PjS8_jN6hipcub16HIPCUB_304000_NS3SumEjEEDaPvRmT3_T4_T5_mT6_P12ihipStream_tbENKUlT_T0_E_clISt17integral_constantIbLb0EESO_IbLb1EEEEDaSK_SL_EUlSK_E_NS1_11comp_targetILNS1_3genE0ELNS1_11target_archE4294967295ELNS1_3gpuE0ELNS1_3repE0EEENS1_30default_config_static_selectorELNS0_4arch9wavefront6targetE0EEEvT1_: ; @_ZN7rocprim17ROCPRIM_400000_NS6detail17trampoline_kernelINS0_14default_configENS1_20scan_config_selectorIjEEZZNS1_9scan_implILNS1_25lookback_scan_determinismE0ELb1ELb1ES3_PjS8_jN6hipcub16HIPCUB_304000_NS3SumEjEEDaPvRmT3_T4_T5_mT6_P12ihipStream_tbENKUlT_T0_E_clISt17integral_constantIbLb0EESO_IbLb1EEEEDaSK_SL_EUlSK_E_NS1_11comp_targetILNS1_3genE0ELNS1_11target_archE4294967295ELNS1_3gpuE0ELNS1_3repE0EEENS1_30default_config_static_selectorELNS0_4arch9wavefront6targetE0EEEvT1_
; %bb.0:
	s_clause 0x1
	s_load_b32 s30, s[0:1], 0x20
	s_load_b64 s[20:21], s[0:1], 0x28
	v_cmp_eq_u32_e64 s2, 0, v0
	s_and_saveexec_b32 s3, s2
	s_cbranch_execz .LBB67_4
; %bb.1:
	s_mov_b32 s5, exec_lo
	s_mov_b32 s4, exec_lo
	v_mbcnt_lo_u32_b32 v1, s5, 0
                                        ; implicit-def: $vgpr2
	s_delay_alu instid0(VALU_DEP_1)
	v_cmpx_eq_u32_e32 0, v1
	s_cbranch_execz .LBB67_3
; %bb.2:
	s_load_b64 s[6:7], s[0:1], 0x58
	s_bcnt1_i32_b32 s5, s5
	s_delay_alu instid0(SALU_CYCLE_1)
	v_dual_mov_b32 v2, 0 :: v_dual_mov_b32 v3, s5
	s_wait_xcnt 0x0
	s_wait_kmcnt 0x0
	global_atomic_add_u32 v2, v2, v3, s[6:7] th:TH_ATOMIC_RETURN scope:SCOPE_DEV
.LBB67_3:
	s_wait_xcnt 0x0
	s_or_b32 exec_lo, exec_lo, s4
	s_wait_loadcnt 0x0
	v_readfirstlane_b32 s4, v2
	s_delay_alu instid0(VALU_DEP_1)
	v_dual_mov_b32 v2, 0 :: v_dual_add_nc_u32 v1, s4, v1
	ds_store_b32 v2, v1
.LBB67_4:
	s_or_b32 exec_lo, exec_lo, s3
	v_dual_mov_b32 v1, 0 :: v_dual_lshlrev_b32 v30, 2, v0
	s_clause 0x2
	s_load_b256 s[12:19], s[0:1], 0x0
	s_load_b32 s22, s[0:1], 0x30
	s_load_b256 s[4:11], s[0:1], 0x38
	s_wait_dscnt 0x0
	s_barrier_signal -1
	s_barrier_wait -1
	ds_load_b32 v31, v1
	s_mov_b32 s29, 0
	s_mov_b32 s3, -1
	s_wait_dscnt 0x0
	s_barrier_signal -1
	s_barrier_wait -1
	s_wait_kmcnt 0x0
	s_lshl_b64 s[14:15], s[14:15], 2
	s_add_co_i32 s0, s22, -1
	s_add_nc_u64 s[24:25], s[12:13], s[14:15]
	s_mul_i32 s28, s0, 0xe00
	s_mov_b32 s13, s29
	v_readfirstlane_b32 s1, v31
	v_cmp_ne_u32_e64 s0, s0, v31
	s_mul_i32 s12, s1, 0xe00
	s_and_b32 vcc_lo, exec_lo, s0
	s_lshl_b64 s[22:23], s[12:13], 2
	s_delay_alu instid0(SALU_CYCLE_1)
	s_add_nc_u64 s[26:27], s[24:25], s[22:23]
	s_cbranch_vccz .LBB67_6
; %bb.5:
	s_clause 0xd
	global_load_b32 v1, v0, s[26:27] scale_offset
	global_load_b32 v2, v0, s[26:27] offset:1024 scale_offset
	global_load_b32 v3, v0, s[26:27] offset:2048 scale_offset
	;; [unrolled: 1-line block ×13, first 2 shown]
	s_mov_b32 s3, s29
	s_wait_loadcnt 0xc
	ds_store_2addr_stride64_b32 v30, v1, v2 offset1:4
	s_wait_loadcnt 0xa
	ds_store_2addr_stride64_b32 v30, v3, v4 offset0:8 offset1:12
	s_wait_loadcnt 0x8
	ds_store_2addr_stride64_b32 v30, v5, v6 offset0:16 offset1:20
	;; [unrolled: 2-line block ×6, first 2 shown]
	s_wait_dscnt 0x0
	s_barrier_signal -1
	s_barrier_wait -1
.LBB67_6:
	s_sub_nc_u64 s[12:13], s[18:19], s[28:29]
	s_and_not1_b32 vcc_lo, exec_lo, s3
	v_cmp_gt_u32_e64 s1, s12, v0
	s_cbranch_vccnz .LBB67_36
; %bb.7:
	v_mov_b32_e32 v1, 0
	global_load_b32 v1, v1, s[26:27]
	s_wait_loadcnt 0x0
	v_dual_mov_b32 v2, v1 :: v_dual_mov_b32 v3, v1
	v_dual_mov_b32 v4, v1 :: v_dual_mov_b32 v5, v1
	;; [unrolled: 1-line block ×6, first 2 shown]
	v_mov_b64_e32 v[16:17], v[14:15]
	s_delay_alu instid0(VALU_DEP_2) | instskip(NEXT) | instid1(VALU_DEP_4)
	v_mov_b64_e32 v[14:15], v[12:13]
	v_mov_b64_e32 v[12:13], v[10:11]
	;; [unrolled: 1-line block ×7, first 2 shown]
	s_and_saveexec_b32 s3, s1
	s_cbranch_execz .LBB67_9
; %bb.8:
	global_load_b32 v18, v0, s[26:27] scale_offset
	v_dual_mov_b32 v2, v1 :: v_dual_mov_b32 v3, v1
	v_dual_mov_b32 v4, v1 :: v_dual_mov_b32 v5, v1
	;; [unrolled: 1-line block ×6, first 2 shown]
	v_mov_b64_e32 v[16:17], v[14:15]
	s_delay_alu instid0(VALU_DEP_2) | instskip(NEXT) | instid1(VALU_DEP_4)
	v_mov_b64_e32 v[14:15], v[12:13]
	v_mov_b64_e32 v[12:13], v[10:11]
	;; [unrolled: 1-line block ×7, first 2 shown]
	s_wait_loadcnt 0x0
	v_mov_b32_e32 v1, v18
.LBB67_9:
	s_or_b32 exec_lo, exec_lo, s3
	v_or_b32_e32 v2, 0x100, v0
	s_mov_b32 s1, exec_lo
	s_delay_alu instid0(VALU_DEP_1)
	v_cmpx_gt_u32_e64 s12, v2
	s_cbranch_execz .LBB67_11
; %bb.10:
	global_load_b32 v3, v0, s[26:27] offset:1024 scale_offset
.LBB67_11:
	s_wait_xcnt 0x0
	s_or_b32 exec_lo, exec_lo, s1
	v_or_b32_e32 v2, 0x200, v0
	s_mov_b32 s1, exec_lo
	s_delay_alu instid0(VALU_DEP_1)
	v_cmpx_gt_u32_e64 s12, v2
	s_cbranch_execz .LBB67_13
; %bb.12:
	global_load_b32 v4, v0, s[26:27] offset:2048 scale_offset
.LBB67_13:
	s_wait_xcnt 0x0
	;; [unrolled: 10-line block ×13, first 2 shown]
	s_or_b32 exec_lo, exec_lo, s1
	s_wait_loadcnt 0x0
	ds_store_2addr_stride64_b32 v30, v1, v3 offset1:4
	ds_store_2addr_stride64_b32 v30, v4, v5 offset0:8 offset1:12
	ds_store_2addr_stride64_b32 v30, v6, v7 offset0:16 offset1:20
	;; [unrolled: 1-line block ×6, first 2 shown]
	s_wait_dscnt 0x0
	s_barrier_signal -1
	s_barrier_wait -1
.LBB67_36:
	v_mul_u32_u24_e32 v1, 56, v0
	v_cmp_ne_u32_e32 vcc_lo, 0, v31
	v_mbcnt_lo_u32_b32 v34, -1, 0
	v_or_b32_e32 v36, 31, v0
	ds_load_2addr_b64 v[26:29], v1 offset1:1
	ds_load_2addr_b64 v[22:25], v1 offset0:2 offset1:3
	ds_load_2addr_b64 v[18:21], v1 offset0:4 offset1:5
	ds_load_b64 v[32:33], v1 offset:48
	s_wait_dscnt 0x0
	s_and_b32 vcc_lo, exec_lo, vcc_lo
	s_barrier_signal -1
	s_barrier_wait -1
	v_dual_lshrrev_b32 v35, 5, v0 :: v_dual_add_nc_u32 v2, v27, v26
	s_delay_alu instid0(VALU_DEP_1)
	v_add3_u32 v37, v2, v28, v29
	s_cbranch_vccz .LBB67_58
; %bb.37:
	s_delay_alu instid0(VALU_DEP_1) | instskip(SKIP_1) | instid1(VALU_DEP_1)
	v_add3_u32 v2, v37, v22, v23
	s_mov_b32 s1, exec_lo
	v_add3_u32 v2, v2, v24, v25
	s_delay_alu instid0(VALU_DEP_1) | instskip(NEXT) | instid1(VALU_DEP_1)
	v_add3_u32 v2, v2, v18, v19
	v_add3_u32 v2, v2, v20, v21
	s_delay_alu instid0(VALU_DEP_1) | instskip(NEXT) | instid1(VALU_DEP_1)
	v_add3_u32 v2, v2, v32, v33
	v_mov_b32_dpp v4, v2 row_shr:1 row_mask:0xf bank_mask:0xf
	v_and_b32_e32 v3, 15, v34
	s_delay_alu instid0(VALU_DEP_1) | instskip(NEXT) | instid1(VALU_DEP_3)
	v_cmp_ne_u32_e32 vcc_lo, 0, v3
	v_cndmask_b32_e32 v4, 0, v4, vcc_lo
	v_cmp_lt_u32_e32 vcc_lo, 1, v3
	s_delay_alu instid0(VALU_DEP_2) | instskip(NEXT) | instid1(VALU_DEP_1)
	v_add_nc_u32_e32 v2, v4, v2
	v_mov_b32_dpp v4, v2 row_shr:2 row_mask:0xf bank_mask:0xf
	s_delay_alu instid0(VALU_DEP_1) | instskip(SKIP_1) | instid1(VALU_DEP_2)
	v_cndmask_b32_e32 v4, 0, v4, vcc_lo
	v_cmp_lt_u32_e32 vcc_lo, 3, v3
	v_add_nc_u32_e32 v2, v2, v4
	s_delay_alu instid0(VALU_DEP_1) | instskip(NEXT) | instid1(VALU_DEP_1)
	v_mov_b32_dpp v4, v2 row_shr:4 row_mask:0xf bank_mask:0xf
	v_cndmask_b32_e32 v4, 0, v4, vcc_lo
	v_cmp_lt_u32_e32 vcc_lo, 7, v3
	s_delay_alu instid0(VALU_DEP_2) | instskip(NEXT) | instid1(VALU_DEP_1)
	v_add_nc_u32_e32 v2, v2, v4
	v_mov_b32_dpp v4, v2 row_shr:8 row_mask:0xf bank_mask:0xf
	s_delay_alu instid0(VALU_DEP_1) | instskip(SKIP_1) | instid1(VALU_DEP_2)
	v_cndmask_b32_e32 v3, 0, v4, vcc_lo
	v_bfe_i32 v4, v34, 4, 1
	v_add_nc_u32_e32 v2, v2, v3
	ds_swizzle_b32 v3, v2 offset:swizzle(BROADCAST,32,15)
	s_wait_dscnt 0x0
	v_and_b32_e32 v3, v4, v3
	s_delay_alu instid0(VALU_DEP_1)
	v_add_nc_u32_e32 v2, v2, v3
	v_cmpx_eq_u32_e64 v0, v36
; %bb.38:
	v_lshlrev_b32_e32 v3, 2, v35
	ds_store_b32 v3, v2
; %bb.39:
	s_or_b32 exec_lo, exec_lo, s1
	s_delay_alu instid0(SALU_CYCLE_1)
	s_mov_b32 s1, exec_lo
	s_wait_dscnt 0x0
	s_barrier_signal -1
	s_barrier_wait -1
	v_cmpx_gt_u32_e32 8, v0
	s_cbranch_execz .LBB67_41
; %bb.40:
	ds_load_b32 v3, v30
	s_wait_dscnt 0x0
	v_mov_b32_dpp v5, v3 row_shr:1 row_mask:0xf bank_mask:0xf
	v_and_b32_e32 v4, 7, v34
	s_delay_alu instid0(VALU_DEP_1) | instskip(NEXT) | instid1(VALU_DEP_3)
	v_cmp_ne_u32_e32 vcc_lo, 0, v4
	v_cndmask_b32_e32 v5, 0, v5, vcc_lo
	v_cmp_lt_u32_e32 vcc_lo, 1, v4
	s_delay_alu instid0(VALU_DEP_2) | instskip(NEXT) | instid1(VALU_DEP_1)
	v_add_nc_u32_e32 v3, v5, v3
	v_mov_b32_dpp v5, v3 row_shr:2 row_mask:0xf bank_mask:0xf
	s_delay_alu instid0(VALU_DEP_1) | instskip(SKIP_1) | instid1(VALU_DEP_2)
	v_cndmask_b32_e32 v5, 0, v5, vcc_lo
	v_cmp_lt_u32_e32 vcc_lo, 3, v4
	v_add_nc_u32_e32 v3, v3, v5
	s_delay_alu instid0(VALU_DEP_1) | instskip(NEXT) | instid1(VALU_DEP_1)
	v_mov_b32_dpp v5, v3 row_shr:4 row_mask:0xf bank_mask:0xf
	v_cndmask_b32_e32 v4, 0, v5, vcc_lo
	s_delay_alu instid0(VALU_DEP_1)
	v_add_nc_u32_e32 v3, v3, v4
	ds_store_b32 v30, v3
.LBB67_41:
	s_or_b32 exec_lo, exec_lo, s1
	s_delay_alu instid0(SALU_CYCLE_1)
	s_mov_b32 s3, exec_lo
	v_cmp_gt_u32_e32 vcc_lo, 32, v0
	s_wait_dscnt 0x0
	s_barrier_signal -1
	s_barrier_wait -1
                                        ; implicit-def: $vgpr10
	v_cmpx_lt_u32_e32 31, v0
	s_cbranch_execz .LBB67_43
; %bb.42:
	v_lshl_add_u32 v3, v35, 2, -4
	ds_load_b32 v10, v3
	s_wait_dscnt 0x0
	v_add_nc_u32_e32 v2, v10, v2
.LBB67_43:
	s_or_b32 exec_lo, exec_lo, s3
	v_sub_co_u32 v3, s1, v34, 1
	s_delay_alu instid0(VALU_DEP_1) | instskip(NEXT) | instid1(VALU_DEP_1)
	v_cmp_gt_i32_e64 s3, 0, v3
	v_cndmask_b32_e64 v3, v3, v34, s3
	s_delay_alu instid0(VALU_DEP_1)
	v_lshlrev_b32_e32 v3, 2, v3
	ds_bpermute_b32 v11, v3, v2
	s_and_saveexec_b32 s3, vcc_lo
	s_cbranch_execz .LBB67_63
; %bb.44:
	v_dual_mov_b32 v9, 0 :: v_dual_add_nc_u32 v12, 32, v31
	ds_load_b32 v2, v9 offset:28
	s_and_saveexec_b32 s18, s1
	s_cbranch_execz .LBB67_46
; %bb.45:
	v_mov_b32_e32 v3, 1
	s_wait_dscnt 0x0
	global_store_b64 v12, v[2:3], s[20:21] scale_offset scope:SCOPE_DEV
.LBB67_46:
	s_wait_xcnt 0x0
	s_or_b32 exec_lo, exec_lo, s18
	v_xad_u32 v4, v34, -1, v31
	s_mov_b32 s19, 0
	s_mov_b32 s18, exec_lo
	s_delay_alu instid0(VALU_DEP_1) | instskip(SKIP_4) | instid1(VALU_DEP_1)
	v_add_nc_u32_e32 v8, 32, v4
	global_load_b64 v[6:7], v8, s[20:21] scale_offset scope:SCOPE_DEV
	s_wait_loadcnt 0x0
	v_and_b32_e32 v3, 0xff, v7
	s_wait_xcnt 0x0
	v_cmpx_eq_u16_e32 0, v3
	s_cbranch_execz .LBB67_50
; %bb.47:
	v_lshl_add_u64 v[8:9], v[8:9], 3, s[20:21]
.LBB67_48:                              ; =>This Inner Loop Header: Depth=1
	global_load_b64 v[6:7], v[8:9], off scope:SCOPE_DEV
	s_wait_loadcnt 0x0
	v_and_b32_e32 v3, 0xff, v7
	s_delay_alu instid0(VALU_DEP_1)
	v_cmp_ne_u16_e32 vcc_lo, 0, v3
	s_or_b32 s19, vcc_lo, s19
	s_wait_xcnt 0x0
	s_and_not1_b32 exec_lo, exec_lo, s19
	s_cbranch_execnz .LBB67_48
; %bb.49:
	s_or_b32 exec_lo, exec_lo, s19
.LBB67_50:
	s_delay_alu instid0(SALU_CYCLE_1)
	s_or_b32 exec_lo, exec_lo, s18
	v_cmp_ne_u32_e32 vcc_lo, 31, v34
	v_and_b32_e32 v5, 0xff, v7
	v_lshlrev_b32_e64 v13, v34, -1
	v_add_nc_u32_e32 v15, 2, v34
	v_lshl_or_b32 v40, v34, 2, 64
	v_add_co_ci_u32_e64 v3, null, 0, v34, vcc_lo
	v_cmp_eq_u16_e32 vcc_lo, 2, v5
	v_dual_add_nc_u32 v38, 8, v34 :: v_dual_add_nc_u32 v41, 16, v34
	v_and_or_b32 v5, vcc_lo, v13, 0x80000000
	v_cmp_gt_u32_e32 vcc_lo, 30, v34
	s_delay_alu instid0(VALU_DEP_2) | instskip(SKIP_1) | instid1(VALU_DEP_2)
	v_ctz_i32_b32_e32 v5, v5
	v_cndmask_b32_e64 v9, 0, 2, vcc_lo
	v_cmp_lt_u32_e32 vcc_lo, v34, v5
	v_lshlrev_b32_e32 v3, 2, v3
	s_delay_alu instid0(VALU_DEP_3)
	v_add_lshl_u32 v14, v9, v34, 2
	ds_bpermute_b32 v8, v3, v6
	s_wait_dscnt 0x0
	v_cndmask_b32_e32 v8, 0, v8, vcc_lo
	v_cmp_gt_u32_e32 vcc_lo, 28, v34
	v_cndmask_b32_e64 v9, 0, 4, vcc_lo
	v_cmp_le_u32_e32 vcc_lo, v15, v5
	s_delay_alu instid0(VALU_DEP_4) | instskip(NEXT) | instid1(VALU_DEP_3)
	v_add_nc_u32_e32 v6, v8, v6
	v_add_lshl_u32 v16, v9, v34, 2
	ds_bpermute_b32 v8, v14, v6
	s_wait_dscnt 0x0
	v_cndmask_b32_e32 v8, 0, v8, vcc_lo
	v_cmp_gt_u32_e32 vcc_lo, 24, v34
	s_delay_alu instid0(VALU_DEP_2) | instskip(SKIP_4) | instid1(VALU_DEP_2)
	v_add_nc_u32_e32 v6, v6, v8
	v_cndmask_b32_e64 v9, 0, 8, vcc_lo
	ds_bpermute_b32 v8, v16, v6
	v_add_nc_u32_e32 v17, 4, v34
	v_add_lshl_u32 v31, v9, v34, 2
	v_cmp_le_u32_e32 vcc_lo, v17, v5
	s_wait_dscnt 0x0
	v_cndmask_b32_e32 v8, 0, v8, vcc_lo
	v_cmp_le_u32_e32 vcc_lo, v38, v5
	s_delay_alu instid0(VALU_DEP_2) | instskip(SKIP_4) | instid1(VALU_DEP_2)
	v_add_nc_u32_e32 v6, v6, v8
	ds_bpermute_b32 v8, v31, v6
	s_wait_dscnt 0x0
	v_cndmask_b32_e32 v8, 0, v8, vcc_lo
	v_cmp_le_u32_e32 vcc_lo, v41, v5
	v_add_nc_u32_e32 v6, v6, v8
	ds_bpermute_b32 v8, v40, v6
	s_wait_dscnt 0x0
	v_cndmask_b32_e32 v5, 0, v8, vcc_lo
	s_delay_alu instid0(VALU_DEP_1)
	v_dual_mov_b32 v5, 0 :: v_dual_add_nc_u32 v6, v6, v5
	s_branch .LBB67_54
.LBB67_51:                              ;   in Loop: Header=BB67_54 Depth=1
	s_or_b32 exec_lo, exec_lo, s19
.LBB67_52:                              ;   in Loop: Header=BB67_54 Depth=1
	s_delay_alu instid0(SALU_CYCLE_1)
	s_or_b32 exec_lo, exec_lo, s18
	v_and_b32_e32 v8, 0xff, v7
	ds_bpermute_b32 v9, v3, v6
	v_subrev_nc_u32_e32 v4, 32, v4
	s_mov_b32 s18, 0
	v_cmp_eq_u16_e32 vcc_lo, 2, v8
	v_and_or_b32 v8, vcc_lo, v13, 0x80000000
	s_delay_alu instid0(VALU_DEP_1) | instskip(NEXT) | instid1(VALU_DEP_1)
	v_ctz_i32_b32_e32 v8, v8
	v_cmp_lt_u32_e32 vcc_lo, v34, v8
	s_wait_dscnt 0x0
	v_cndmask_b32_e32 v9, 0, v9, vcc_lo
	v_cmp_le_u32_e32 vcc_lo, v15, v8
	s_delay_alu instid0(VALU_DEP_2) | instskip(SKIP_4) | instid1(VALU_DEP_2)
	v_add_nc_u32_e32 v6, v9, v6
	ds_bpermute_b32 v9, v14, v6
	s_wait_dscnt 0x0
	v_cndmask_b32_e32 v9, 0, v9, vcc_lo
	v_cmp_le_u32_e32 vcc_lo, v17, v8
	v_add_nc_u32_e32 v6, v6, v9
	ds_bpermute_b32 v9, v16, v6
	s_wait_dscnt 0x0
	v_cndmask_b32_e32 v9, 0, v9, vcc_lo
	v_cmp_le_u32_e32 vcc_lo, v38, v8
	s_delay_alu instid0(VALU_DEP_2) | instskip(SKIP_4) | instid1(VALU_DEP_2)
	v_add_nc_u32_e32 v6, v6, v9
	ds_bpermute_b32 v9, v31, v6
	s_wait_dscnt 0x0
	v_cndmask_b32_e32 v9, 0, v9, vcc_lo
	v_cmp_le_u32_e32 vcc_lo, v41, v8
	v_add_nc_u32_e32 v6, v6, v9
	ds_bpermute_b32 v9, v40, v6
	s_wait_dscnt 0x0
	v_cndmask_b32_e32 v8, 0, v9, vcc_lo
	s_delay_alu instid0(VALU_DEP_1)
	v_add3_u32 v6, v8, v39, v6
.LBB67_53:                              ;   in Loop: Header=BB67_54 Depth=1
	s_and_b32 vcc_lo, exec_lo, s18
	s_cbranch_vccnz .LBB67_59
.LBB67_54:                              ; =>This Loop Header: Depth=1
                                        ;     Child Loop BB67_57 Depth 2
	v_and_b32_e32 v7, 0xff, v7
	s_delay_alu instid0(VALU_DEP_2) | instskip(SKIP_1) | instid1(VALU_DEP_2)
	v_mov_b32_e32 v39, v6
	s_mov_b32 s18, -1
                                        ; implicit-def: $vgpr6
	v_cmp_ne_u16_e32 vcc_lo, 2, v7
                                        ; implicit-def: $vgpr7
	s_cmp_lg_u32 vcc_lo, exec_lo
	s_cbranch_scc1 .LBB67_53
; %bb.55:                               ;   in Loop: Header=BB67_54 Depth=1
	global_load_b64 v[6:7], v4, s[20:21] scale_offset scope:SCOPE_DEV
	s_mov_b32 s18, exec_lo
	s_wait_loadcnt 0x0
	v_and_b32_e32 v8, 0xff, v7
	s_wait_xcnt 0x0
	s_delay_alu instid0(VALU_DEP_1)
	v_cmpx_eq_u16_e32 0, v8
	s_cbranch_execz .LBB67_52
; %bb.56:                               ;   in Loop: Header=BB67_54 Depth=1
	v_lshl_add_u64 v[8:9], v[4:5], 3, s[20:21]
	s_mov_b32 s19, 0
.LBB67_57:                              ;   Parent Loop BB67_54 Depth=1
                                        ; =>  This Inner Loop Header: Depth=2
	global_load_b64 v[6:7], v[8:9], off scope:SCOPE_DEV
	s_wait_loadcnt 0x0
	v_and_b32_e32 v42, 0xff, v7
	s_delay_alu instid0(VALU_DEP_1)
	v_cmp_ne_u16_e32 vcc_lo, 0, v42
	s_or_b32 s19, vcc_lo, s19
	s_wait_xcnt 0x0
	s_and_not1_b32 exec_lo, exec_lo, s19
	s_cbranch_execnz .LBB67_57
	s_branch .LBB67_51
.LBB67_58:
                                        ; implicit-def: $vgpr2_vgpr3_vgpr4_vgpr5_vgpr6_vgpr7_vgpr8_vgpr9_vgpr10_vgpr11_vgpr12_vgpr13_vgpr14_vgpr15_vgpr16_vgpr17
	s_cbranch_execnz .LBB67_64
	s_branch .LBB67_75
.LBB67_59:
	s_and_saveexec_b32 s18, s1
	s_cbranch_execz .LBB67_61
; %bb.60:
	v_dual_mov_b32 v3, 2 :: v_dual_add_nc_u32 v2, v39, v2
	global_store_b64 v12, v[2:3], s[20:21] scale_offset scope:SCOPE_DEV
.LBB67_61:
	s_wait_xcnt 0x0
	s_or_b32 exec_lo, exec_lo, s18
	s_delay_alu instid0(SALU_CYCLE_1)
	s_and_b32 exec_lo, exec_lo, s2
; %bb.62:
	v_mov_b32_e32 v2, 0
	ds_store_b32 v2, v39 offset:28
.LBB67_63:
	s_or_b32 exec_lo, exec_lo, s3
	s_wait_dscnt 0x0
	v_dual_mov_b32 v2, 0 :: v_dual_cndmask_b32 v3, v11, v10, s1
	s_wait_storecnt 0x0
	s_barrier_signal -1
	s_barrier_wait -1
	ds_load_b32 v2, v2 offset:28
	v_cndmask_b32_e64 v3, v3, 0, s2
	s_wait_dscnt 0x0
	s_delay_alu instid0(VALU_DEP_1) | instskip(NEXT) | instid1(VALU_DEP_1)
	v_add_nc_u32_e32 v2, v2, v3
	v_add_nc_u32_e32 v3, v2, v26
	s_delay_alu instid0(VALU_DEP_1) | instskip(NEXT) | instid1(VALU_DEP_1)
	v_add_nc_u32_e32 v4, v3, v27
	v_add_nc_u32_e32 v5, v4, v28
	;; [unrolled: 3-line block ×7, first 2 shown]
	s_branch .LBB67_75
.LBB67_64:
	v_mov_b32_e32 v16, s30
	s_cmp_eq_u64 s[8:9], 0
	s_cbranch_scc1 .LBB67_66
; %bb.65:
	v_mov_b32_e32 v2, 0
	s_clause 0x1
	global_load_b32 v3, v2, s[24:25] offset:-4
	global_load_b32 v4, v2, s[4:5]
	s_wait_loadcnt 0x0
	v_add_nc_u32_e32 v16, v4, v3
.LBB67_66:
	v_add3_u32 v2, v37, v22, v23
	s_mov_b32 s1, exec_lo
	s_delay_alu instid0(VALU_DEP_1) | instskip(NEXT) | instid1(VALU_DEP_1)
	v_add3_u32 v2, v2, v24, v25
	v_add3_u32 v2, v2, v18, v19
	s_delay_alu instid0(VALU_DEP_1) | instskip(NEXT) | instid1(VALU_DEP_1)
	v_add3_u32 v2, v2, v20, v21
	v_add3_u32 v2, v2, v32, v33
	s_delay_alu instid0(VALU_DEP_1) | instskip(SKIP_1) | instid1(VALU_DEP_1)
	v_mov_b32_dpp v4, v2 row_shr:1 row_mask:0xf bank_mask:0xf
	v_and_b32_e32 v3, 15, v34
	v_cmp_ne_u32_e32 vcc_lo, 0, v3
	s_delay_alu instid0(VALU_DEP_3) | instskip(SKIP_1) | instid1(VALU_DEP_2)
	v_cndmask_b32_e32 v4, 0, v4, vcc_lo
	v_cmp_lt_u32_e32 vcc_lo, 1, v3
	v_add_nc_u32_e32 v2, v4, v2
	s_delay_alu instid0(VALU_DEP_1) | instskip(NEXT) | instid1(VALU_DEP_1)
	v_mov_b32_dpp v4, v2 row_shr:2 row_mask:0xf bank_mask:0xf
	v_cndmask_b32_e32 v4, 0, v4, vcc_lo
	v_cmp_lt_u32_e32 vcc_lo, 3, v3
	s_delay_alu instid0(VALU_DEP_2) | instskip(NEXT) | instid1(VALU_DEP_1)
	v_add_nc_u32_e32 v2, v2, v4
	v_mov_b32_dpp v4, v2 row_shr:4 row_mask:0xf bank_mask:0xf
	s_delay_alu instid0(VALU_DEP_1) | instskip(SKIP_1) | instid1(VALU_DEP_2)
	v_cndmask_b32_e32 v4, 0, v4, vcc_lo
	v_cmp_lt_u32_e32 vcc_lo, 7, v3
	v_add_nc_u32_e32 v2, v2, v4
	s_delay_alu instid0(VALU_DEP_1) | instskip(NEXT) | instid1(VALU_DEP_1)
	v_mov_b32_dpp v4, v2 row_shr:8 row_mask:0xf bank_mask:0xf
	v_cndmask_b32_e32 v3, 0, v4, vcc_lo
	v_bfe_i32 v4, v34, 4, 1
	s_delay_alu instid0(VALU_DEP_2) | instskip(SKIP_3) | instid1(VALU_DEP_1)
	v_add_nc_u32_e32 v2, v2, v3
	ds_swizzle_b32 v3, v2 offset:swizzle(BROADCAST,32,15)
	s_wait_dscnt 0x0
	v_and_b32_e32 v3, v4, v3
	v_add_nc_u32_e32 v2, v2, v3
	v_cmpx_eq_u32_e64 v0, v36
; %bb.67:
	v_lshlrev_b32_e32 v3, 2, v35
	ds_store_b32 v3, v2
; %bb.68:
	s_or_b32 exec_lo, exec_lo, s1
	s_delay_alu instid0(SALU_CYCLE_1)
	s_mov_b32 s1, exec_lo
	s_wait_dscnt 0x0
	s_barrier_signal -1
	s_barrier_wait -1
	v_cmpx_gt_u32_e32 8, v0
	s_cbranch_execz .LBB67_70
; %bb.69:
	v_mad_i32_i24 v3, 0xffffffcc, v0, v1
	ds_load_b32 v4, v3
	v_and_b32_e32 v5, 7, v34
	s_delay_alu instid0(VALU_DEP_1) | instskip(SKIP_2) | instid1(VALU_DEP_1)
	v_cmp_ne_u32_e32 vcc_lo, 0, v5
	s_wait_dscnt 0x0
	v_mov_b32_dpp v6, v4 row_shr:1 row_mask:0xf bank_mask:0xf
	v_cndmask_b32_e32 v6, 0, v6, vcc_lo
	s_delay_alu instid0(VALU_DEP_1) | instskip(SKIP_1) | instid1(VALU_DEP_2)
	v_add_nc_u32_e32 v4, v6, v4
	v_cmp_lt_u32_e32 vcc_lo, 1, v5
	v_mov_b32_dpp v6, v4 row_shr:2 row_mask:0xf bank_mask:0xf
	s_delay_alu instid0(VALU_DEP_1) | instskip(SKIP_1) | instid1(VALU_DEP_2)
	v_cndmask_b32_e32 v6, 0, v6, vcc_lo
	v_cmp_lt_u32_e32 vcc_lo, 3, v5
	v_add_nc_u32_e32 v4, v4, v6
	s_delay_alu instid0(VALU_DEP_1) | instskip(NEXT) | instid1(VALU_DEP_1)
	v_mov_b32_dpp v6, v4 row_shr:4 row_mask:0xf bank_mask:0xf
	v_cndmask_b32_e32 v5, 0, v6, vcc_lo
	s_delay_alu instid0(VALU_DEP_1)
	v_add_nc_u32_e32 v4, v4, v5
	ds_store_b32 v3, v4
.LBB67_70:
	s_or_b32 exec_lo, exec_lo, s1
	v_mov_b32_e32 v3, v16
	s_mov_b32 s1, exec_lo
	s_wait_dscnt 0x0
	s_barrier_signal -1
	s_barrier_wait -1
	v_cmpx_lt_u32_e32 31, v0
	s_cbranch_execz .LBB67_72
; %bb.71:
	v_lshl_add_u32 v3, v35, 2, -4
	ds_load_b32 v3, v3
	s_wait_dscnt 0x0
	v_add_nc_u32_e32 v3, v3, v16
.LBB67_72:
	s_or_b32 exec_lo, exec_lo, s1
	v_sub_co_u32 v4, vcc_lo, v34, 1
	s_delay_alu instid0(VALU_DEP_1) | instskip(NEXT) | instid1(VALU_DEP_1)
	v_cmp_gt_i32_e64 s1, 0, v4
	v_cndmask_b32_e64 v4, v4, v34, s1
	s_delay_alu instid0(VALU_DEP_1) | instskip(SKIP_3) | instid1(VALU_DEP_1)
	v_dual_add_nc_u32 v2, v3, v2 :: v_dual_lshlrev_b32 v4, 2, v4
	ds_bpermute_b32 v2, v4, v2
	s_wait_dscnt 0x0
	v_cndmask_b32_e32 v2, v2, v3, vcc_lo
	v_cndmask_b32_e64 v2, v2, v16, s2
	s_delay_alu instid0(VALU_DEP_1) | instskip(NEXT) | instid1(VALU_DEP_1)
	v_add_nc_u32_e32 v3, v2, v26
	v_add_nc_u32_e32 v4, v3, v27
	s_delay_alu instid0(VALU_DEP_1) | instskip(NEXT) | instid1(VALU_DEP_1)
	v_add_nc_u32_e32 v5, v4, v28
	v_add_nc_u32_e32 v6, v5, v29
	;; [unrolled: 3-line block ×6, first 2 shown]
	s_delay_alu instid0(VALU_DEP_1)
	v_add_nc_u32_e32 v15, v14, v32
	s_and_saveexec_b32 s1, s2
	s_cbranch_execz .LBB67_74
; %bb.73:
	v_mov_b32_e32 v18, 0
	ds_load_b32 v17, v18 offset:28
	s_wait_dscnt 0x0
	v_dual_mov_b32 v17, 2 :: v_dual_add_nc_u32 v16, v17, v16
	global_store_b64 v18, v[16:17], s[20:21] offset:256 scope:SCOPE_DEV
.LBB67_74:
	s_wait_xcnt 0x0
	s_or_b32 exec_lo, exec_lo, s1
.LBB67_75:
	s_add_nc_u64 s[2:3], s[16:17], s[14:15]
	s_and_b32 vcc_lo, exec_lo, s0
	s_add_nc_u64 s[2:3], s[2:3], s[22:23]
	s_mov_b32 s0, -1
	s_wait_storecnt 0x0
	s_barrier_signal -1
	s_barrier_wait -1
	s_cbranch_vccz .LBB67_77
; %bb.76:
	ds_store_2addr_b64 v1, v[2:3], v[4:5] offset1:1
	ds_store_2addr_b64 v1, v[6:7], v[8:9] offset0:2 offset1:3
	ds_store_2addr_b64 v1, v[10:11], v[12:13] offset0:4 offset1:5
	ds_store_b64 v1, v[14:15] offset:48
	s_wait_dscnt 0x0
	s_barrier_signal -1
	s_barrier_wait -1
	ds_load_2addr_stride64_b32 v[16:17], v30 offset1:4
	ds_load_2addr_stride64_b32 v[18:19], v30 offset0:8 offset1:12
	ds_load_2addr_stride64_b32 v[20:21], v30 offset0:16 offset1:20
	;; [unrolled: 1-line block ×6, first 2 shown]
	s_mov_b32 s0, 0
	s_wait_dscnt 0x6
	s_clause 0x1
	global_store_b32 v0, v16, s[2:3] scale_offset
	global_store_b32 v0, v17, s[2:3] offset:1024 scale_offset
	s_wait_dscnt 0x5
	s_clause 0x1
	global_store_b32 v0, v18, s[2:3] offset:2048 scale_offset
	global_store_b32 v0, v19, s[2:3] offset:3072 scale_offset
	s_wait_dscnt 0x4
	s_clause 0x1
	global_store_b32 v0, v20, s[2:3] offset:4096 scale_offset
	;; [unrolled: 4-line block ×6, first 2 shown]
	global_store_b32 v0, v29, s[2:3] offset:13312 scale_offset
.LBB67_77:
	s_and_not1_b32 vcc_lo, exec_lo, s0
	s_cbranch_vccnz .LBB67_157
; %bb.78:
	ds_store_2addr_b64 v1, v[2:3], v[4:5] offset1:1
	ds_store_2addr_b64 v1, v[6:7], v[8:9] offset0:2 offset1:3
	ds_store_2addr_b64 v1, v[10:11], v[12:13] offset0:4 offset1:5
	ds_store_b64 v1, v[14:15] offset:48
	s_wait_storecnt_dscnt 0x0
	s_barrier_signal -1
	s_barrier_wait -1
	ds_load_2addr_stride64_b32 v[4:5], v30 offset1:4
	ds_load_2addr_stride64_b32 v[6:7], v30 offset0:8 offset1:12
	ds_load_2addr_stride64_b32 v[8:9], v30 offset0:16 offset1:20
	;; [unrolled: 1-line block ×6, first 2 shown]
	v_mov_b32_e32 v31, 0
	s_mov_b32 s0, exec_lo
	s_wait_xcnt 0xc
	s_delay_alu instid0(VALU_DEP_1)
	v_add_nc_u64_e32 v[16:17], s[2:3], v[30:31]
	s_wait_xcnt 0x0
	v_cmpx_gt_u32_e64 s12, v0
	s_cbranch_execz .LBB67_80
; %bb.79:
	s_wait_dscnt 0x6
	global_store_b32 v[16:17], v4, off
.LBB67_80:
	s_wait_xcnt 0x0
	s_or_b32 exec_lo, exec_lo, s0
	v_or_b32_e32 v1, 0x100, v0
	s_mov_b32 s0, exec_lo
	s_delay_alu instid0(VALU_DEP_1)
	v_cmpx_gt_u32_e64 s12, v1
	s_cbranch_execz .LBB67_82
; %bb.81:
	s_wait_dscnt 0x6
	global_store_b32 v[16:17], v5, off offset:1024
.LBB67_82:
	s_wait_xcnt 0x0
	s_or_b32 exec_lo, exec_lo, s0
	v_or_b32_e32 v1, 0x200, v0
	s_mov_b32 s0, exec_lo
	s_delay_alu instid0(VALU_DEP_1)
	v_cmpx_gt_u32_e64 s12, v1
	s_cbranch_execz .LBB67_84
; %bb.83:
	s_wait_dscnt 0x5
	global_store_b32 v[16:17], v6, off offset:2048
.LBB67_84:
	;; [unrolled: 11-line block ×13, first 2 shown]
	s_wait_xcnt 0x0
	s_or_b32 exec_lo, exec_lo, s0
	v_cmp_lt_u64_e64 s0, s[10:11], 2
	s_and_b32 vcc_lo, exec_lo, s0
	s_cbranch_vccnz .LBB67_157
; %bb.107:
	s_add_nc_u64 s[0:1], s[12:13], -1
	s_mov_b64 s[4:5], 0xffffffff
	s_lshr_b64 s[2:3], s[0:1], 1
	s_lshr_b32 s8, s1, 1
	s_and_b64 s[2:3], s[2:3], s[4:5]
	s_mov_b32 s9, 0
	s_mul_u64 s[4:5], s[2:3], 0x24924925
	s_mul_u64 s[10:11], s[8:9], 0x24924925
	s_mov_b32 s4, s5
	s_mov_b32 s5, s9
	s_mul_u64 s[2:3], s[2:3], 0x49249249
	s_add_nc_u64 s[4:5], s[10:11], s[4:5]
	s_mov_b32 s11, s9
	s_mov_b32 s10, s5
	;; [unrolled: 1-line block ×3, first 2 shown]
	v_mov_b32_e32 v1, v31
	s_add_nc_u64 s[2:3], s[2:3], s[4:5]
	s_mul_u64 s[4:5], s[8:9], 0x49249249
	s_mov_b32 s2, s3
	s_mov_b32 s3, s9
	s_delay_alu instid0(SALU_CYCLE_1) | instskip(NEXT) | instid1(SALU_CYCLE_1)
	s_add_nc_u64 s[2:3], s[10:11], s[2:3]
	s_add_nc_u64 s[2:3], s[4:5], s[2:3]
	s_delay_alu instid0(SALU_CYCLE_1) | instskip(NEXT) | instid1(SALU_CYCLE_1)
	s_lshr_b64 s[2:3], s[2:3], 1
	v_cmp_eq_u64_e32 vcc_lo, s[2:3], v[0:1]
	s_and_saveexec_b32 s2, vcc_lo
	s_cbranch_execz .LBB67_157
; %bb.108:
	v_mul_hi_u32_u24_e32 v1, 14, v0
	v_mul_u32_u24_e32 v0, 14, v0
	s_delay_alu instid0(VALU_DEP_1) | instskip(SKIP_1) | instid1(VALU_DEP_1)
	v_sub_nc_u64_e32 v[0:1], s[0:1], v[0:1]
	s_mov_b32 s0, exec_lo
	v_cmpx_lt_i64_e32 6, v[0:1]
	s_xor_b32 s0, exec_lo, s0
	s_cbranch_execz .LBB67_134
; %bb.109:
	s_mov_b32 s1, exec_lo
	v_cmpx_lt_i64_e32 9, v[0:1]
	s_xor_b32 s1, exec_lo, s1
	s_cbranch_execz .LBB67_123
; %bb.110:
	;; [unrolled: 5-line block ×4, first 2 shown]
	v_mov_b32_e32 v0, 0
	s_wait_dscnt 0x0
	global_store_b32 v0, v15, s[6:7]
                                        ; implicit-def: $vgpr14_vgpr15
.LBB67_113:
	s_wait_xcnt 0x0
	s_and_not1_saveexec_b32 s3, s3
	s_cbranch_execz .LBB67_115
; %bb.114:
	v_mov_b32_e32 v0, 0
	s_wait_dscnt 0x0
	global_store_b32 v0, v14, s[6:7]
.LBB67_115:
	s_wait_xcnt 0x0
	s_or_b32 exec_lo, exec_lo, s3
                                        ; implicit-def: $vgpr10_vgpr11
                                        ; implicit-def: $vgpr0_vgpr1
.LBB67_116:
	s_and_not1_saveexec_b32 s2, s2
	s_cbranch_execz .LBB67_122
; %bb.117:
	s_mov_b32 s3, exec_lo
	v_cmpx_lt_i64_e32 10, v[0:1]
	s_xor_b32 s3, exec_lo, s3
	s_cbranch_execz .LBB67_119
; %bb.118:
	v_mov_b32_e32 v0, 0
	s_wait_dscnt 0x1
	global_store_b32 v0, v11, s[6:7]
                                        ; implicit-def: $vgpr10_vgpr11
.LBB67_119:
	s_wait_xcnt 0x0
	s_and_not1_saveexec_b32 s3, s3
	s_cbranch_execz .LBB67_121
; %bb.120:
	v_mov_b32_e32 v0, 0
	s_wait_dscnt 0x1
	global_store_b32 v0, v10, s[6:7]
.LBB67_121:
	s_wait_xcnt 0x0
	s_or_b32 exec_lo, exec_lo, s3
.LBB67_122:
	s_delay_alu instid0(SALU_CYCLE_1)
	s_or_b32 exec_lo, exec_lo, s2
                                        ; implicit-def: $vgpr2_vgpr3
                                        ; implicit-def: $vgpr0_vgpr1
                                        ; implicit-def: $vgpr12_vgpr13
.LBB67_123:
	s_and_not1_saveexec_b32 s1, s1
	s_cbranch_execz .LBB67_133
; %bb.124:
	s_mov_b32 s2, exec_lo
	v_cmpx_lt_i64_e32 7, v[0:1]
	s_xor_b32 s2, exec_lo, s2
	s_cbranch_execz .LBB67_130
; %bb.125:
	s_mov_b32 s3, exec_lo
	v_cmpx_lt_i64_e32 8, v[0:1]
	s_xor_b32 s3, exec_lo, s3
	s_cbranch_execz .LBB67_127
; %bb.126:
	v_mov_b32_e32 v0, 0
	s_wait_dscnt 0x2
	global_store_b32 v0, v13, s[6:7]
                                        ; implicit-def: $vgpr12_vgpr13
.LBB67_127:
	s_wait_xcnt 0x0
	s_and_not1_saveexec_b32 s3, s3
	s_cbranch_execz .LBB67_129
; %bb.128:
	v_mov_b32_e32 v0, 0
	s_wait_dscnt 0x2
	global_store_b32 v0, v12, s[6:7]
.LBB67_129:
	s_wait_xcnt 0x0
	s_or_b32 exec_lo, exec_lo, s3
                                        ; implicit-def: $vgpr2_vgpr3
.LBB67_130:
	s_and_not1_saveexec_b32 s2, s2
	s_cbranch_execz .LBB67_132
; %bb.131:
	v_mov_b32_e32 v0, 0
	s_wait_dscnt 0x3
	global_store_b32 v0, v3, s[6:7]
.LBB67_132:
	s_wait_xcnt 0x0
	s_or_b32 exec_lo, exec_lo, s2
.LBB67_133:
	s_delay_alu instid0(SALU_CYCLE_1)
	s_or_b32 exec_lo, exec_lo, s1
                                        ; implicit-def: $vgpr0_vgpr1
                                        ; implicit-def: $vgpr8_vgpr9
                                        ; implicit-def: $vgpr4_vgpr5
                                        ; implicit-def: $vgpr6_vgpr7
                                        ; implicit-def: $vgpr2_vgpr3
.LBB67_134:
	s_and_not1_saveexec_b32 s0, s0
	s_cbranch_execz .LBB67_157
; %bb.135:
	s_mov_b32 s0, exec_lo
	v_cmpx_lt_i64_e32 3, v[0:1]
	s_xor_b32 s0, exec_lo, s0
	s_cbranch_execz .LBB67_145
; %bb.136:
	s_mov_b32 s1, exec_lo
	v_cmpx_lt_i64_e32 4, v[0:1]
	s_xor_b32 s1, exec_lo, s1
	;; [unrolled: 5-line block ×3, first 2 shown]
	s_cbranch_execz .LBB67_139
; %bb.138:
	v_mov_b32_e32 v0, 0
                                        ; implicit-def: $vgpr8_vgpr9
	s_wait_dscnt 0x3
	global_store_b32 v0, v2, s[6:7]
.LBB67_139:
	s_wait_xcnt 0x0
	s_and_not1_saveexec_b32 s2, s2
	s_cbranch_execz .LBB67_141
; %bb.140:
	v_mov_b32_e32 v0, 0
	s_wait_dscnt 0x4
	global_store_b32 v0, v9, s[6:7]
.LBB67_141:
	s_wait_xcnt 0x0
	s_or_b32 exec_lo, exec_lo, s2
                                        ; implicit-def: $vgpr8_vgpr9
.LBB67_142:
	s_and_not1_saveexec_b32 s1, s1
	s_cbranch_execz .LBB67_144
; %bb.143:
	v_mov_b32_e32 v0, 0
	s_wait_dscnt 0x4
	global_store_b32 v0, v8, s[6:7]
.LBB67_144:
	s_wait_xcnt 0x0
	s_or_b32 exec_lo, exec_lo, s1
                                        ; implicit-def: $vgpr0_vgpr1
                                        ; implicit-def: $vgpr4_vgpr5
                                        ; implicit-def: $vgpr6_vgpr7
.LBB67_145:
	s_and_not1_saveexec_b32 s0, s0
	s_cbranch_execz .LBB67_157
; %bb.146:
	s_mov_b32 s0, exec_lo
	v_cmpx_lt_i64_e32 1, v[0:1]
	s_xor_b32 s0, exec_lo, s0
	s_cbranch_execz .LBB67_152
; %bb.147:
	s_mov_b32 s1, exec_lo
	v_cmpx_lt_i64_e32 2, v[0:1]
	s_xor_b32 s1, exec_lo, s1
	s_cbranch_execz .LBB67_149
; %bb.148:
	v_mov_b32_e32 v0, 0
	s_wait_dscnt 0x5
	global_store_b32 v0, v7, s[6:7]
                                        ; implicit-def: $vgpr6_vgpr7
.LBB67_149:
	s_wait_xcnt 0x0
	s_and_not1_saveexec_b32 s1, s1
	s_cbranch_execz .LBB67_151
; %bb.150:
	v_mov_b32_e32 v0, 0
	s_wait_dscnt 0x5
	global_store_b32 v0, v6, s[6:7]
.LBB67_151:
	s_wait_xcnt 0x0
	s_or_b32 exec_lo, exec_lo, s1
                                        ; implicit-def: $vgpr4_vgpr5
                                        ; implicit-def: $vgpr0_vgpr1
.LBB67_152:
	s_and_not1_saveexec_b32 s0, s0
	s_cbranch_execz .LBB67_157
; %bb.153:
	s_mov_b32 s0, exec_lo
	v_cmpx_ne_u64_e32 1, v[0:1]
	s_xor_b32 s0, exec_lo, s0
	s_cbranch_execz .LBB67_155
; %bb.154:
	v_mov_b32_e32 v0, 0
	s_wait_dscnt 0x6
	global_store_b32 v0, v4, s[6:7]
                                        ; implicit-def: $vgpr4_vgpr5
.LBB67_155:
	s_wait_xcnt 0x0
	s_and_not1_saveexec_b32 s0, s0
	s_cbranch_execz .LBB67_157
; %bb.156:
	v_mov_b32_e32 v0, 0
	s_wait_dscnt 0x6
	global_store_b32 v0, v5, s[6:7]
.LBB67_157:
	s_endpgm
	.section	.rodata,"a",@progbits
	.p2align	6, 0x0
	.amdhsa_kernel _ZN7rocprim17ROCPRIM_400000_NS6detail17trampoline_kernelINS0_14default_configENS1_20scan_config_selectorIjEEZZNS1_9scan_implILNS1_25lookback_scan_determinismE0ELb1ELb1ES3_PjS8_jN6hipcub16HIPCUB_304000_NS3SumEjEEDaPvRmT3_T4_T5_mT6_P12ihipStream_tbENKUlT_T0_E_clISt17integral_constantIbLb0EESO_IbLb1EEEEDaSK_SL_EUlSK_E_NS1_11comp_targetILNS1_3genE0ELNS1_11target_archE4294967295ELNS1_3gpuE0ELNS1_3repE0EEENS1_30default_config_static_selectorELNS0_4arch9wavefront6targetE0EEEvT1_
		.amdhsa_group_segment_fixed_size 14336
		.amdhsa_private_segment_fixed_size 0
		.amdhsa_kernarg_size 96
		.amdhsa_user_sgpr_count 2
		.amdhsa_user_sgpr_dispatch_ptr 0
		.amdhsa_user_sgpr_queue_ptr 0
		.amdhsa_user_sgpr_kernarg_segment_ptr 1
		.amdhsa_user_sgpr_dispatch_id 0
		.amdhsa_user_sgpr_kernarg_preload_length 0
		.amdhsa_user_sgpr_kernarg_preload_offset 0
		.amdhsa_user_sgpr_private_segment_size 0
		.amdhsa_wavefront_size32 1
		.amdhsa_uses_dynamic_stack 0
		.amdhsa_enable_private_segment 0
		.amdhsa_system_sgpr_workgroup_id_x 1
		.amdhsa_system_sgpr_workgroup_id_y 0
		.amdhsa_system_sgpr_workgroup_id_z 0
		.amdhsa_system_sgpr_workgroup_info 0
		.amdhsa_system_vgpr_workitem_id 0
		.amdhsa_next_free_vgpr 43
		.amdhsa_next_free_sgpr 31
		.amdhsa_named_barrier_count 0
		.amdhsa_reserve_vcc 1
		.amdhsa_float_round_mode_32 0
		.amdhsa_float_round_mode_16_64 0
		.amdhsa_float_denorm_mode_32 3
		.amdhsa_float_denorm_mode_16_64 3
		.amdhsa_fp16_overflow 0
		.amdhsa_memory_ordered 1
		.amdhsa_forward_progress 1
		.amdhsa_inst_pref_size 46
		.amdhsa_round_robin_scheduling 0
		.amdhsa_exception_fp_ieee_invalid_op 0
		.amdhsa_exception_fp_denorm_src 0
		.amdhsa_exception_fp_ieee_div_zero 0
		.amdhsa_exception_fp_ieee_overflow 0
		.amdhsa_exception_fp_ieee_underflow 0
		.amdhsa_exception_fp_ieee_inexact 0
		.amdhsa_exception_int_div_zero 0
	.end_amdhsa_kernel
	.section	.text._ZN7rocprim17ROCPRIM_400000_NS6detail17trampoline_kernelINS0_14default_configENS1_20scan_config_selectorIjEEZZNS1_9scan_implILNS1_25lookback_scan_determinismE0ELb1ELb1ES3_PjS8_jN6hipcub16HIPCUB_304000_NS3SumEjEEDaPvRmT3_T4_T5_mT6_P12ihipStream_tbENKUlT_T0_E_clISt17integral_constantIbLb0EESO_IbLb1EEEEDaSK_SL_EUlSK_E_NS1_11comp_targetILNS1_3genE0ELNS1_11target_archE4294967295ELNS1_3gpuE0ELNS1_3repE0EEENS1_30default_config_static_selectorELNS0_4arch9wavefront6targetE0EEEvT1_,"axG",@progbits,_ZN7rocprim17ROCPRIM_400000_NS6detail17trampoline_kernelINS0_14default_configENS1_20scan_config_selectorIjEEZZNS1_9scan_implILNS1_25lookback_scan_determinismE0ELb1ELb1ES3_PjS8_jN6hipcub16HIPCUB_304000_NS3SumEjEEDaPvRmT3_T4_T5_mT6_P12ihipStream_tbENKUlT_T0_E_clISt17integral_constantIbLb0EESO_IbLb1EEEEDaSK_SL_EUlSK_E_NS1_11comp_targetILNS1_3genE0ELNS1_11target_archE4294967295ELNS1_3gpuE0ELNS1_3repE0EEENS1_30default_config_static_selectorELNS0_4arch9wavefront6targetE0EEEvT1_,comdat
.Lfunc_end67:
	.size	_ZN7rocprim17ROCPRIM_400000_NS6detail17trampoline_kernelINS0_14default_configENS1_20scan_config_selectorIjEEZZNS1_9scan_implILNS1_25lookback_scan_determinismE0ELb1ELb1ES3_PjS8_jN6hipcub16HIPCUB_304000_NS3SumEjEEDaPvRmT3_T4_T5_mT6_P12ihipStream_tbENKUlT_T0_E_clISt17integral_constantIbLb0EESO_IbLb1EEEEDaSK_SL_EUlSK_E_NS1_11comp_targetILNS1_3genE0ELNS1_11target_archE4294967295ELNS1_3gpuE0ELNS1_3repE0EEENS1_30default_config_static_selectorELNS0_4arch9wavefront6targetE0EEEvT1_, .Lfunc_end67-_ZN7rocprim17ROCPRIM_400000_NS6detail17trampoline_kernelINS0_14default_configENS1_20scan_config_selectorIjEEZZNS1_9scan_implILNS1_25lookback_scan_determinismE0ELb1ELb1ES3_PjS8_jN6hipcub16HIPCUB_304000_NS3SumEjEEDaPvRmT3_T4_T5_mT6_P12ihipStream_tbENKUlT_T0_E_clISt17integral_constantIbLb0EESO_IbLb1EEEEDaSK_SL_EUlSK_E_NS1_11comp_targetILNS1_3genE0ELNS1_11target_archE4294967295ELNS1_3gpuE0ELNS1_3repE0EEENS1_30default_config_static_selectorELNS0_4arch9wavefront6targetE0EEEvT1_
                                        ; -- End function
	.set _ZN7rocprim17ROCPRIM_400000_NS6detail17trampoline_kernelINS0_14default_configENS1_20scan_config_selectorIjEEZZNS1_9scan_implILNS1_25lookback_scan_determinismE0ELb1ELb1ES3_PjS8_jN6hipcub16HIPCUB_304000_NS3SumEjEEDaPvRmT3_T4_T5_mT6_P12ihipStream_tbENKUlT_T0_E_clISt17integral_constantIbLb0EESO_IbLb1EEEEDaSK_SL_EUlSK_E_NS1_11comp_targetILNS1_3genE0ELNS1_11target_archE4294967295ELNS1_3gpuE0ELNS1_3repE0EEENS1_30default_config_static_selectorELNS0_4arch9wavefront6targetE0EEEvT1_.num_vgpr, 43
	.set _ZN7rocprim17ROCPRIM_400000_NS6detail17trampoline_kernelINS0_14default_configENS1_20scan_config_selectorIjEEZZNS1_9scan_implILNS1_25lookback_scan_determinismE0ELb1ELb1ES3_PjS8_jN6hipcub16HIPCUB_304000_NS3SumEjEEDaPvRmT3_T4_T5_mT6_P12ihipStream_tbENKUlT_T0_E_clISt17integral_constantIbLb0EESO_IbLb1EEEEDaSK_SL_EUlSK_E_NS1_11comp_targetILNS1_3genE0ELNS1_11target_archE4294967295ELNS1_3gpuE0ELNS1_3repE0EEENS1_30default_config_static_selectorELNS0_4arch9wavefront6targetE0EEEvT1_.num_agpr, 0
	.set _ZN7rocprim17ROCPRIM_400000_NS6detail17trampoline_kernelINS0_14default_configENS1_20scan_config_selectorIjEEZZNS1_9scan_implILNS1_25lookback_scan_determinismE0ELb1ELb1ES3_PjS8_jN6hipcub16HIPCUB_304000_NS3SumEjEEDaPvRmT3_T4_T5_mT6_P12ihipStream_tbENKUlT_T0_E_clISt17integral_constantIbLb0EESO_IbLb1EEEEDaSK_SL_EUlSK_E_NS1_11comp_targetILNS1_3genE0ELNS1_11target_archE4294967295ELNS1_3gpuE0ELNS1_3repE0EEENS1_30default_config_static_selectorELNS0_4arch9wavefront6targetE0EEEvT1_.numbered_sgpr, 31
	.set _ZN7rocprim17ROCPRIM_400000_NS6detail17trampoline_kernelINS0_14default_configENS1_20scan_config_selectorIjEEZZNS1_9scan_implILNS1_25lookback_scan_determinismE0ELb1ELb1ES3_PjS8_jN6hipcub16HIPCUB_304000_NS3SumEjEEDaPvRmT3_T4_T5_mT6_P12ihipStream_tbENKUlT_T0_E_clISt17integral_constantIbLb0EESO_IbLb1EEEEDaSK_SL_EUlSK_E_NS1_11comp_targetILNS1_3genE0ELNS1_11target_archE4294967295ELNS1_3gpuE0ELNS1_3repE0EEENS1_30default_config_static_selectorELNS0_4arch9wavefront6targetE0EEEvT1_.num_named_barrier, 0
	.set _ZN7rocprim17ROCPRIM_400000_NS6detail17trampoline_kernelINS0_14default_configENS1_20scan_config_selectorIjEEZZNS1_9scan_implILNS1_25lookback_scan_determinismE0ELb1ELb1ES3_PjS8_jN6hipcub16HIPCUB_304000_NS3SumEjEEDaPvRmT3_T4_T5_mT6_P12ihipStream_tbENKUlT_T0_E_clISt17integral_constantIbLb0EESO_IbLb1EEEEDaSK_SL_EUlSK_E_NS1_11comp_targetILNS1_3genE0ELNS1_11target_archE4294967295ELNS1_3gpuE0ELNS1_3repE0EEENS1_30default_config_static_selectorELNS0_4arch9wavefront6targetE0EEEvT1_.private_seg_size, 0
	.set _ZN7rocprim17ROCPRIM_400000_NS6detail17trampoline_kernelINS0_14default_configENS1_20scan_config_selectorIjEEZZNS1_9scan_implILNS1_25lookback_scan_determinismE0ELb1ELb1ES3_PjS8_jN6hipcub16HIPCUB_304000_NS3SumEjEEDaPvRmT3_T4_T5_mT6_P12ihipStream_tbENKUlT_T0_E_clISt17integral_constantIbLb0EESO_IbLb1EEEEDaSK_SL_EUlSK_E_NS1_11comp_targetILNS1_3genE0ELNS1_11target_archE4294967295ELNS1_3gpuE0ELNS1_3repE0EEENS1_30default_config_static_selectorELNS0_4arch9wavefront6targetE0EEEvT1_.uses_vcc, 1
	.set _ZN7rocprim17ROCPRIM_400000_NS6detail17trampoline_kernelINS0_14default_configENS1_20scan_config_selectorIjEEZZNS1_9scan_implILNS1_25lookback_scan_determinismE0ELb1ELb1ES3_PjS8_jN6hipcub16HIPCUB_304000_NS3SumEjEEDaPvRmT3_T4_T5_mT6_P12ihipStream_tbENKUlT_T0_E_clISt17integral_constantIbLb0EESO_IbLb1EEEEDaSK_SL_EUlSK_E_NS1_11comp_targetILNS1_3genE0ELNS1_11target_archE4294967295ELNS1_3gpuE0ELNS1_3repE0EEENS1_30default_config_static_selectorELNS0_4arch9wavefront6targetE0EEEvT1_.uses_flat_scratch, 0
	.set _ZN7rocprim17ROCPRIM_400000_NS6detail17trampoline_kernelINS0_14default_configENS1_20scan_config_selectorIjEEZZNS1_9scan_implILNS1_25lookback_scan_determinismE0ELb1ELb1ES3_PjS8_jN6hipcub16HIPCUB_304000_NS3SumEjEEDaPvRmT3_T4_T5_mT6_P12ihipStream_tbENKUlT_T0_E_clISt17integral_constantIbLb0EESO_IbLb1EEEEDaSK_SL_EUlSK_E_NS1_11comp_targetILNS1_3genE0ELNS1_11target_archE4294967295ELNS1_3gpuE0ELNS1_3repE0EEENS1_30default_config_static_selectorELNS0_4arch9wavefront6targetE0EEEvT1_.has_dyn_sized_stack, 0
	.set _ZN7rocprim17ROCPRIM_400000_NS6detail17trampoline_kernelINS0_14default_configENS1_20scan_config_selectorIjEEZZNS1_9scan_implILNS1_25lookback_scan_determinismE0ELb1ELb1ES3_PjS8_jN6hipcub16HIPCUB_304000_NS3SumEjEEDaPvRmT3_T4_T5_mT6_P12ihipStream_tbENKUlT_T0_E_clISt17integral_constantIbLb0EESO_IbLb1EEEEDaSK_SL_EUlSK_E_NS1_11comp_targetILNS1_3genE0ELNS1_11target_archE4294967295ELNS1_3gpuE0ELNS1_3repE0EEENS1_30default_config_static_selectorELNS0_4arch9wavefront6targetE0EEEvT1_.has_recursion, 0
	.set _ZN7rocprim17ROCPRIM_400000_NS6detail17trampoline_kernelINS0_14default_configENS1_20scan_config_selectorIjEEZZNS1_9scan_implILNS1_25lookback_scan_determinismE0ELb1ELb1ES3_PjS8_jN6hipcub16HIPCUB_304000_NS3SumEjEEDaPvRmT3_T4_T5_mT6_P12ihipStream_tbENKUlT_T0_E_clISt17integral_constantIbLb0EESO_IbLb1EEEEDaSK_SL_EUlSK_E_NS1_11comp_targetILNS1_3genE0ELNS1_11target_archE4294967295ELNS1_3gpuE0ELNS1_3repE0EEENS1_30default_config_static_selectorELNS0_4arch9wavefront6targetE0EEEvT1_.has_indirect_call, 0
	.section	.AMDGPU.csdata,"",@progbits
; Kernel info:
; codeLenInByte = 5808
; TotalNumSgprs: 33
; NumVgprs: 43
; ScratchSize: 0
; MemoryBound: 0
; FloatMode: 240
; IeeeMode: 1
; LDSByteSize: 14336 bytes/workgroup (compile time only)
; SGPRBlocks: 0
; VGPRBlocks: 2
; NumSGPRsForWavesPerEU: 33
; NumVGPRsForWavesPerEU: 43
; NamedBarCnt: 0
; Occupancy: 16
; WaveLimiterHint : 1
; COMPUTE_PGM_RSRC2:SCRATCH_EN: 0
; COMPUTE_PGM_RSRC2:USER_SGPR: 2
; COMPUTE_PGM_RSRC2:TRAP_HANDLER: 0
; COMPUTE_PGM_RSRC2:TGID_X_EN: 1
; COMPUTE_PGM_RSRC2:TGID_Y_EN: 0
; COMPUTE_PGM_RSRC2:TGID_Z_EN: 0
; COMPUTE_PGM_RSRC2:TIDIG_COMP_CNT: 0
	.section	.text._ZN7rocprim17ROCPRIM_400000_NS6detail17trampoline_kernelINS0_14default_configENS1_20scan_config_selectorIjEEZZNS1_9scan_implILNS1_25lookback_scan_determinismE0ELb1ELb1ES3_PjS8_jN6hipcub16HIPCUB_304000_NS3SumEjEEDaPvRmT3_T4_T5_mT6_P12ihipStream_tbENKUlT_T0_E_clISt17integral_constantIbLb0EESO_IbLb1EEEEDaSK_SL_EUlSK_E_NS1_11comp_targetILNS1_3genE5ELNS1_11target_archE942ELNS1_3gpuE9ELNS1_3repE0EEENS1_30default_config_static_selectorELNS0_4arch9wavefront6targetE0EEEvT1_,"axG",@progbits,_ZN7rocprim17ROCPRIM_400000_NS6detail17trampoline_kernelINS0_14default_configENS1_20scan_config_selectorIjEEZZNS1_9scan_implILNS1_25lookback_scan_determinismE0ELb1ELb1ES3_PjS8_jN6hipcub16HIPCUB_304000_NS3SumEjEEDaPvRmT3_T4_T5_mT6_P12ihipStream_tbENKUlT_T0_E_clISt17integral_constantIbLb0EESO_IbLb1EEEEDaSK_SL_EUlSK_E_NS1_11comp_targetILNS1_3genE5ELNS1_11target_archE942ELNS1_3gpuE9ELNS1_3repE0EEENS1_30default_config_static_selectorELNS0_4arch9wavefront6targetE0EEEvT1_,comdat
	.protected	_ZN7rocprim17ROCPRIM_400000_NS6detail17trampoline_kernelINS0_14default_configENS1_20scan_config_selectorIjEEZZNS1_9scan_implILNS1_25lookback_scan_determinismE0ELb1ELb1ES3_PjS8_jN6hipcub16HIPCUB_304000_NS3SumEjEEDaPvRmT3_T4_T5_mT6_P12ihipStream_tbENKUlT_T0_E_clISt17integral_constantIbLb0EESO_IbLb1EEEEDaSK_SL_EUlSK_E_NS1_11comp_targetILNS1_3genE5ELNS1_11target_archE942ELNS1_3gpuE9ELNS1_3repE0EEENS1_30default_config_static_selectorELNS0_4arch9wavefront6targetE0EEEvT1_ ; -- Begin function _ZN7rocprim17ROCPRIM_400000_NS6detail17trampoline_kernelINS0_14default_configENS1_20scan_config_selectorIjEEZZNS1_9scan_implILNS1_25lookback_scan_determinismE0ELb1ELb1ES3_PjS8_jN6hipcub16HIPCUB_304000_NS3SumEjEEDaPvRmT3_T4_T5_mT6_P12ihipStream_tbENKUlT_T0_E_clISt17integral_constantIbLb0EESO_IbLb1EEEEDaSK_SL_EUlSK_E_NS1_11comp_targetILNS1_3genE5ELNS1_11target_archE942ELNS1_3gpuE9ELNS1_3repE0EEENS1_30default_config_static_selectorELNS0_4arch9wavefront6targetE0EEEvT1_
	.globl	_ZN7rocprim17ROCPRIM_400000_NS6detail17trampoline_kernelINS0_14default_configENS1_20scan_config_selectorIjEEZZNS1_9scan_implILNS1_25lookback_scan_determinismE0ELb1ELb1ES3_PjS8_jN6hipcub16HIPCUB_304000_NS3SumEjEEDaPvRmT3_T4_T5_mT6_P12ihipStream_tbENKUlT_T0_E_clISt17integral_constantIbLb0EESO_IbLb1EEEEDaSK_SL_EUlSK_E_NS1_11comp_targetILNS1_3genE5ELNS1_11target_archE942ELNS1_3gpuE9ELNS1_3repE0EEENS1_30default_config_static_selectorELNS0_4arch9wavefront6targetE0EEEvT1_
	.p2align	8
	.type	_ZN7rocprim17ROCPRIM_400000_NS6detail17trampoline_kernelINS0_14default_configENS1_20scan_config_selectorIjEEZZNS1_9scan_implILNS1_25lookback_scan_determinismE0ELb1ELb1ES3_PjS8_jN6hipcub16HIPCUB_304000_NS3SumEjEEDaPvRmT3_T4_T5_mT6_P12ihipStream_tbENKUlT_T0_E_clISt17integral_constantIbLb0EESO_IbLb1EEEEDaSK_SL_EUlSK_E_NS1_11comp_targetILNS1_3genE5ELNS1_11target_archE942ELNS1_3gpuE9ELNS1_3repE0EEENS1_30default_config_static_selectorELNS0_4arch9wavefront6targetE0EEEvT1_,@function
_ZN7rocprim17ROCPRIM_400000_NS6detail17trampoline_kernelINS0_14default_configENS1_20scan_config_selectorIjEEZZNS1_9scan_implILNS1_25lookback_scan_determinismE0ELb1ELb1ES3_PjS8_jN6hipcub16HIPCUB_304000_NS3SumEjEEDaPvRmT3_T4_T5_mT6_P12ihipStream_tbENKUlT_T0_E_clISt17integral_constantIbLb0EESO_IbLb1EEEEDaSK_SL_EUlSK_E_NS1_11comp_targetILNS1_3genE5ELNS1_11target_archE942ELNS1_3gpuE9ELNS1_3repE0EEENS1_30default_config_static_selectorELNS0_4arch9wavefront6targetE0EEEvT1_: ; @_ZN7rocprim17ROCPRIM_400000_NS6detail17trampoline_kernelINS0_14default_configENS1_20scan_config_selectorIjEEZZNS1_9scan_implILNS1_25lookback_scan_determinismE0ELb1ELb1ES3_PjS8_jN6hipcub16HIPCUB_304000_NS3SumEjEEDaPvRmT3_T4_T5_mT6_P12ihipStream_tbENKUlT_T0_E_clISt17integral_constantIbLb0EESO_IbLb1EEEEDaSK_SL_EUlSK_E_NS1_11comp_targetILNS1_3genE5ELNS1_11target_archE942ELNS1_3gpuE9ELNS1_3repE0EEENS1_30default_config_static_selectorELNS0_4arch9wavefront6targetE0EEEvT1_
; %bb.0:
	.section	.rodata,"a",@progbits
	.p2align	6, 0x0
	.amdhsa_kernel _ZN7rocprim17ROCPRIM_400000_NS6detail17trampoline_kernelINS0_14default_configENS1_20scan_config_selectorIjEEZZNS1_9scan_implILNS1_25lookback_scan_determinismE0ELb1ELb1ES3_PjS8_jN6hipcub16HIPCUB_304000_NS3SumEjEEDaPvRmT3_T4_T5_mT6_P12ihipStream_tbENKUlT_T0_E_clISt17integral_constantIbLb0EESO_IbLb1EEEEDaSK_SL_EUlSK_E_NS1_11comp_targetILNS1_3genE5ELNS1_11target_archE942ELNS1_3gpuE9ELNS1_3repE0EEENS1_30default_config_static_selectorELNS0_4arch9wavefront6targetE0EEEvT1_
		.amdhsa_group_segment_fixed_size 0
		.amdhsa_private_segment_fixed_size 0
		.amdhsa_kernarg_size 96
		.amdhsa_user_sgpr_count 2
		.amdhsa_user_sgpr_dispatch_ptr 0
		.amdhsa_user_sgpr_queue_ptr 0
		.amdhsa_user_sgpr_kernarg_segment_ptr 1
		.amdhsa_user_sgpr_dispatch_id 0
		.amdhsa_user_sgpr_kernarg_preload_length 0
		.amdhsa_user_sgpr_kernarg_preload_offset 0
		.amdhsa_user_sgpr_private_segment_size 0
		.amdhsa_wavefront_size32 1
		.amdhsa_uses_dynamic_stack 0
		.amdhsa_enable_private_segment 0
		.amdhsa_system_sgpr_workgroup_id_x 1
		.amdhsa_system_sgpr_workgroup_id_y 0
		.amdhsa_system_sgpr_workgroup_id_z 0
		.amdhsa_system_sgpr_workgroup_info 0
		.amdhsa_system_vgpr_workitem_id 0
		.amdhsa_next_free_vgpr 1
		.amdhsa_next_free_sgpr 1
		.amdhsa_named_barrier_count 0
		.amdhsa_reserve_vcc 0
		.amdhsa_float_round_mode_32 0
		.amdhsa_float_round_mode_16_64 0
		.amdhsa_float_denorm_mode_32 3
		.amdhsa_float_denorm_mode_16_64 3
		.amdhsa_fp16_overflow 0
		.amdhsa_memory_ordered 1
		.amdhsa_forward_progress 1
		.amdhsa_inst_pref_size 0
		.amdhsa_round_robin_scheduling 0
		.amdhsa_exception_fp_ieee_invalid_op 0
		.amdhsa_exception_fp_denorm_src 0
		.amdhsa_exception_fp_ieee_div_zero 0
		.amdhsa_exception_fp_ieee_overflow 0
		.amdhsa_exception_fp_ieee_underflow 0
		.amdhsa_exception_fp_ieee_inexact 0
		.amdhsa_exception_int_div_zero 0
	.end_amdhsa_kernel
	.section	.text._ZN7rocprim17ROCPRIM_400000_NS6detail17trampoline_kernelINS0_14default_configENS1_20scan_config_selectorIjEEZZNS1_9scan_implILNS1_25lookback_scan_determinismE0ELb1ELb1ES3_PjS8_jN6hipcub16HIPCUB_304000_NS3SumEjEEDaPvRmT3_T4_T5_mT6_P12ihipStream_tbENKUlT_T0_E_clISt17integral_constantIbLb0EESO_IbLb1EEEEDaSK_SL_EUlSK_E_NS1_11comp_targetILNS1_3genE5ELNS1_11target_archE942ELNS1_3gpuE9ELNS1_3repE0EEENS1_30default_config_static_selectorELNS0_4arch9wavefront6targetE0EEEvT1_,"axG",@progbits,_ZN7rocprim17ROCPRIM_400000_NS6detail17trampoline_kernelINS0_14default_configENS1_20scan_config_selectorIjEEZZNS1_9scan_implILNS1_25lookback_scan_determinismE0ELb1ELb1ES3_PjS8_jN6hipcub16HIPCUB_304000_NS3SumEjEEDaPvRmT3_T4_T5_mT6_P12ihipStream_tbENKUlT_T0_E_clISt17integral_constantIbLb0EESO_IbLb1EEEEDaSK_SL_EUlSK_E_NS1_11comp_targetILNS1_3genE5ELNS1_11target_archE942ELNS1_3gpuE9ELNS1_3repE0EEENS1_30default_config_static_selectorELNS0_4arch9wavefront6targetE0EEEvT1_,comdat
.Lfunc_end68:
	.size	_ZN7rocprim17ROCPRIM_400000_NS6detail17trampoline_kernelINS0_14default_configENS1_20scan_config_selectorIjEEZZNS1_9scan_implILNS1_25lookback_scan_determinismE0ELb1ELb1ES3_PjS8_jN6hipcub16HIPCUB_304000_NS3SumEjEEDaPvRmT3_T4_T5_mT6_P12ihipStream_tbENKUlT_T0_E_clISt17integral_constantIbLb0EESO_IbLb1EEEEDaSK_SL_EUlSK_E_NS1_11comp_targetILNS1_3genE5ELNS1_11target_archE942ELNS1_3gpuE9ELNS1_3repE0EEENS1_30default_config_static_selectorELNS0_4arch9wavefront6targetE0EEEvT1_, .Lfunc_end68-_ZN7rocprim17ROCPRIM_400000_NS6detail17trampoline_kernelINS0_14default_configENS1_20scan_config_selectorIjEEZZNS1_9scan_implILNS1_25lookback_scan_determinismE0ELb1ELb1ES3_PjS8_jN6hipcub16HIPCUB_304000_NS3SumEjEEDaPvRmT3_T4_T5_mT6_P12ihipStream_tbENKUlT_T0_E_clISt17integral_constantIbLb0EESO_IbLb1EEEEDaSK_SL_EUlSK_E_NS1_11comp_targetILNS1_3genE5ELNS1_11target_archE942ELNS1_3gpuE9ELNS1_3repE0EEENS1_30default_config_static_selectorELNS0_4arch9wavefront6targetE0EEEvT1_
                                        ; -- End function
	.set _ZN7rocprim17ROCPRIM_400000_NS6detail17trampoline_kernelINS0_14default_configENS1_20scan_config_selectorIjEEZZNS1_9scan_implILNS1_25lookback_scan_determinismE0ELb1ELb1ES3_PjS8_jN6hipcub16HIPCUB_304000_NS3SumEjEEDaPvRmT3_T4_T5_mT6_P12ihipStream_tbENKUlT_T0_E_clISt17integral_constantIbLb0EESO_IbLb1EEEEDaSK_SL_EUlSK_E_NS1_11comp_targetILNS1_3genE5ELNS1_11target_archE942ELNS1_3gpuE9ELNS1_3repE0EEENS1_30default_config_static_selectorELNS0_4arch9wavefront6targetE0EEEvT1_.num_vgpr, 0
	.set _ZN7rocprim17ROCPRIM_400000_NS6detail17trampoline_kernelINS0_14default_configENS1_20scan_config_selectorIjEEZZNS1_9scan_implILNS1_25lookback_scan_determinismE0ELb1ELb1ES3_PjS8_jN6hipcub16HIPCUB_304000_NS3SumEjEEDaPvRmT3_T4_T5_mT6_P12ihipStream_tbENKUlT_T0_E_clISt17integral_constantIbLb0EESO_IbLb1EEEEDaSK_SL_EUlSK_E_NS1_11comp_targetILNS1_3genE5ELNS1_11target_archE942ELNS1_3gpuE9ELNS1_3repE0EEENS1_30default_config_static_selectorELNS0_4arch9wavefront6targetE0EEEvT1_.num_agpr, 0
	.set _ZN7rocprim17ROCPRIM_400000_NS6detail17trampoline_kernelINS0_14default_configENS1_20scan_config_selectorIjEEZZNS1_9scan_implILNS1_25lookback_scan_determinismE0ELb1ELb1ES3_PjS8_jN6hipcub16HIPCUB_304000_NS3SumEjEEDaPvRmT3_T4_T5_mT6_P12ihipStream_tbENKUlT_T0_E_clISt17integral_constantIbLb0EESO_IbLb1EEEEDaSK_SL_EUlSK_E_NS1_11comp_targetILNS1_3genE5ELNS1_11target_archE942ELNS1_3gpuE9ELNS1_3repE0EEENS1_30default_config_static_selectorELNS0_4arch9wavefront6targetE0EEEvT1_.numbered_sgpr, 0
	.set _ZN7rocprim17ROCPRIM_400000_NS6detail17trampoline_kernelINS0_14default_configENS1_20scan_config_selectorIjEEZZNS1_9scan_implILNS1_25lookback_scan_determinismE0ELb1ELb1ES3_PjS8_jN6hipcub16HIPCUB_304000_NS3SumEjEEDaPvRmT3_T4_T5_mT6_P12ihipStream_tbENKUlT_T0_E_clISt17integral_constantIbLb0EESO_IbLb1EEEEDaSK_SL_EUlSK_E_NS1_11comp_targetILNS1_3genE5ELNS1_11target_archE942ELNS1_3gpuE9ELNS1_3repE0EEENS1_30default_config_static_selectorELNS0_4arch9wavefront6targetE0EEEvT1_.num_named_barrier, 0
	.set _ZN7rocprim17ROCPRIM_400000_NS6detail17trampoline_kernelINS0_14default_configENS1_20scan_config_selectorIjEEZZNS1_9scan_implILNS1_25lookback_scan_determinismE0ELb1ELb1ES3_PjS8_jN6hipcub16HIPCUB_304000_NS3SumEjEEDaPvRmT3_T4_T5_mT6_P12ihipStream_tbENKUlT_T0_E_clISt17integral_constantIbLb0EESO_IbLb1EEEEDaSK_SL_EUlSK_E_NS1_11comp_targetILNS1_3genE5ELNS1_11target_archE942ELNS1_3gpuE9ELNS1_3repE0EEENS1_30default_config_static_selectorELNS0_4arch9wavefront6targetE0EEEvT1_.private_seg_size, 0
	.set _ZN7rocprim17ROCPRIM_400000_NS6detail17trampoline_kernelINS0_14default_configENS1_20scan_config_selectorIjEEZZNS1_9scan_implILNS1_25lookback_scan_determinismE0ELb1ELb1ES3_PjS8_jN6hipcub16HIPCUB_304000_NS3SumEjEEDaPvRmT3_T4_T5_mT6_P12ihipStream_tbENKUlT_T0_E_clISt17integral_constantIbLb0EESO_IbLb1EEEEDaSK_SL_EUlSK_E_NS1_11comp_targetILNS1_3genE5ELNS1_11target_archE942ELNS1_3gpuE9ELNS1_3repE0EEENS1_30default_config_static_selectorELNS0_4arch9wavefront6targetE0EEEvT1_.uses_vcc, 0
	.set _ZN7rocprim17ROCPRIM_400000_NS6detail17trampoline_kernelINS0_14default_configENS1_20scan_config_selectorIjEEZZNS1_9scan_implILNS1_25lookback_scan_determinismE0ELb1ELb1ES3_PjS8_jN6hipcub16HIPCUB_304000_NS3SumEjEEDaPvRmT3_T4_T5_mT6_P12ihipStream_tbENKUlT_T0_E_clISt17integral_constantIbLb0EESO_IbLb1EEEEDaSK_SL_EUlSK_E_NS1_11comp_targetILNS1_3genE5ELNS1_11target_archE942ELNS1_3gpuE9ELNS1_3repE0EEENS1_30default_config_static_selectorELNS0_4arch9wavefront6targetE0EEEvT1_.uses_flat_scratch, 0
	.set _ZN7rocprim17ROCPRIM_400000_NS6detail17trampoline_kernelINS0_14default_configENS1_20scan_config_selectorIjEEZZNS1_9scan_implILNS1_25lookback_scan_determinismE0ELb1ELb1ES3_PjS8_jN6hipcub16HIPCUB_304000_NS3SumEjEEDaPvRmT3_T4_T5_mT6_P12ihipStream_tbENKUlT_T0_E_clISt17integral_constantIbLb0EESO_IbLb1EEEEDaSK_SL_EUlSK_E_NS1_11comp_targetILNS1_3genE5ELNS1_11target_archE942ELNS1_3gpuE9ELNS1_3repE0EEENS1_30default_config_static_selectorELNS0_4arch9wavefront6targetE0EEEvT1_.has_dyn_sized_stack, 0
	.set _ZN7rocprim17ROCPRIM_400000_NS6detail17trampoline_kernelINS0_14default_configENS1_20scan_config_selectorIjEEZZNS1_9scan_implILNS1_25lookback_scan_determinismE0ELb1ELb1ES3_PjS8_jN6hipcub16HIPCUB_304000_NS3SumEjEEDaPvRmT3_T4_T5_mT6_P12ihipStream_tbENKUlT_T0_E_clISt17integral_constantIbLb0EESO_IbLb1EEEEDaSK_SL_EUlSK_E_NS1_11comp_targetILNS1_3genE5ELNS1_11target_archE942ELNS1_3gpuE9ELNS1_3repE0EEENS1_30default_config_static_selectorELNS0_4arch9wavefront6targetE0EEEvT1_.has_recursion, 0
	.set _ZN7rocprim17ROCPRIM_400000_NS6detail17trampoline_kernelINS0_14default_configENS1_20scan_config_selectorIjEEZZNS1_9scan_implILNS1_25lookback_scan_determinismE0ELb1ELb1ES3_PjS8_jN6hipcub16HIPCUB_304000_NS3SumEjEEDaPvRmT3_T4_T5_mT6_P12ihipStream_tbENKUlT_T0_E_clISt17integral_constantIbLb0EESO_IbLb1EEEEDaSK_SL_EUlSK_E_NS1_11comp_targetILNS1_3genE5ELNS1_11target_archE942ELNS1_3gpuE9ELNS1_3repE0EEENS1_30default_config_static_selectorELNS0_4arch9wavefront6targetE0EEEvT1_.has_indirect_call, 0
	.section	.AMDGPU.csdata,"",@progbits
; Kernel info:
; codeLenInByte = 0
; TotalNumSgprs: 0
; NumVgprs: 0
; ScratchSize: 0
; MemoryBound: 0
; FloatMode: 240
; IeeeMode: 1
; LDSByteSize: 0 bytes/workgroup (compile time only)
; SGPRBlocks: 0
; VGPRBlocks: 0
; NumSGPRsForWavesPerEU: 1
; NumVGPRsForWavesPerEU: 1
; NamedBarCnt: 0
; Occupancy: 16
; WaveLimiterHint : 0
; COMPUTE_PGM_RSRC2:SCRATCH_EN: 0
; COMPUTE_PGM_RSRC2:USER_SGPR: 2
; COMPUTE_PGM_RSRC2:TRAP_HANDLER: 0
; COMPUTE_PGM_RSRC2:TGID_X_EN: 1
; COMPUTE_PGM_RSRC2:TGID_Y_EN: 0
; COMPUTE_PGM_RSRC2:TGID_Z_EN: 0
; COMPUTE_PGM_RSRC2:TIDIG_COMP_CNT: 0
	.section	.text._ZN7rocprim17ROCPRIM_400000_NS6detail17trampoline_kernelINS0_14default_configENS1_20scan_config_selectorIjEEZZNS1_9scan_implILNS1_25lookback_scan_determinismE0ELb1ELb1ES3_PjS8_jN6hipcub16HIPCUB_304000_NS3SumEjEEDaPvRmT3_T4_T5_mT6_P12ihipStream_tbENKUlT_T0_E_clISt17integral_constantIbLb0EESO_IbLb1EEEEDaSK_SL_EUlSK_E_NS1_11comp_targetILNS1_3genE4ELNS1_11target_archE910ELNS1_3gpuE8ELNS1_3repE0EEENS1_30default_config_static_selectorELNS0_4arch9wavefront6targetE0EEEvT1_,"axG",@progbits,_ZN7rocprim17ROCPRIM_400000_NS6detail17trampoline_kernelINS0_14default_configENS1_20scan_config_selectorIjEEZZNS1_9scan_implILNS1_25lookback_scan_determinismE0ELb1ELb1ES3_PjS8_jN6hipcub16HIPCUB_304000_NS3SumEjEEDaPvRmT3_T4_T5_mT6_P12ihipStream_tbENKUlT_T0_E_clISt17integral_constantIbLb0EESO_IbLb1EEEEDaSK_SL_EUlSK_E_NS1_11comp_targetILNS1_3genE4ELNS1_11target_archE910ELNS1_3gpuE8ELNS1_3repE0EEENS1_30default_config_static_selectorELNS0_4arch9wavefront6targetE0EEEvT1_,comdat
	.protected	_ZN7rocprim17ROCPRIM_400000_NS6detail17trampoline_kernelINS0_14default_configENS1_20scan_config_selectorIjEEZZNS1_9scan_implILNS1_25lookback_scan_determinismE0ELb1ELb1ES3_PjS8_jN6hipcub16HIPCUB_304000_NS3SumEjEEDaPvRmT3_T4_T5_mT6_P12ihipStream_tbENKUlT_T0_E_clISt17integral_constantIbLb0EESO_IbLb1EEEEDaSK_SL_EUlSK_E_NS1_11comp_targetILNS1_3genE4ELNS1_11target_archE910ELNS1_3gpuE8ELNS1_3repE0EEENS1_30default_config_static_selectorELNS0_4arch9wavefront6targetE0EEEvT1_ ; -- Begin function _ZN7rocprim17ROCPRIM_400000_NS6detail17trampoline_kernelINS0_14default_configENS1_20scan_config_selectorIjEEZZNS1_9scan_implILNS1_25lookback_scan_determinismE0ELb1ELb1ES3_PjS8_jN6hipcub16HIPCUB_304000_NS3SumEjEEDaPvRmT3_T4_T5_mT6_P12ihipStream_tbENKUlT_T0_E_clISt17integral_constantIbLb0EESO_IbLb1EEEEDaSK_SL_EUlSK_E_NS1_11comp_targetILNS1_3genE4ELNS1_11target_archE910ELNS1_3gpuE8ELNS1_3repE0EEENS1_30default_config_static_selectorELNS0_4arch9wavefront6targetE0EEEvT1_
	.globl	_ZN7rocprim17ROCPRIM_400000_NS6detail17trampoline_kernelINS0_14default_configENS1_20scan_config_selectorIjEEZZNS1_9scan_implILNS1_25lookback_scan_determinismE0ELb1ELb1ES3_PjS8_jN6hipcub16HIPCUB_304000_NS3SumEjEEDaPvRmT3_T4_T5_mT6_P12ihipStream_tbENKUlT_T0_E_clISt17integral_constantIbLb0EESO_IbLb1EEEEDaSK_SL_EUlSK_E_NS1_11comp_targetILNS1_3genE4ELNS1_11target_archE910ELNS1_3gpuE8ELNS1_3repE0EEENS1_30default_config_static_selectorELNS0_4arch9wavefront6targetE0EEEvT1_
	.p2align	8
	.type	_ZN7rocprim17ROCPRIM_400000_NS6detail17trampoline_kernelINS0_14default_configENS1_20scan_config_selectorIjEEZZNS1_9scan_implILNS1_25lookback_scan_determinismE0ELb1ELb1ES3_PjS8_jN6hipcub16HIPCUB_304000_NS3SumEjEEDaPvRmT3_T4_T5_mT6_P12ihipStream_tbENKUlT_T0_E_clISt17integral_constantIbLb0EESO_IbLb1EEEEDaSK_SL_EUlSK_E_NS1_11comp_targetILNS1_3genE4ELNS1_11target_archE910ELNS1_3gpuE8ELNS1_3repE0EEENS1_30default_config_static_selectorELNS0_4arch9wavefront6targetE0EEEvT1_,@function
_ZN7rocprim17ROCPRIM_400000_NS6detail17trampoline_kernelINS0_14default_configENS1_20scan_config_selectorIjEEZZNS1_9scan_implILNS1_25lookback_scan_determinismE0ELb1ELb1ES3_PjS8_jN6hipcub16HIPCUB_304000_NS3SumEjEEDaPvRmT3_T4_T5_mT6_P12ihipStream_tbENKUlT_T0_E_clISt17integral_constantIbLb0EESO_IbLb1EEEEDaSK_SL_EUlSK_E_NS1_11comp_targetILNS1_3genE4ELNS1_11target_archE910ELNS1_3gpuE8ELNS1_3repE0EEENS1_30default_config_static_selectorELNS0_4arch9wavefront6targetE0EEEvT1_: ; @_ZN7rocprim17ROCPRIM_400000_NS6detail17trampoline_kernelINS0_14default_configENS1_20scan_config_selectorIjEEZZNS1_9scan_implILNS1_25lookback_scan_determinismE0ELb1ELb1ES3_PjS8_jN6hipcub16HIPCUB_304000_NS3SumEjEEDaPvRmT3_T4_T5_mT6_P12ihipStream_tbENKUlT_T0_E_clISt17integral_constantIbLb0EESO_IbLb1EEEEDaSK_SL_EUlSK_E_NS1_11comp_targetILNS1_3genE4ELNS1_11target_archE910ELNS1_3gpuE8ELNS1_3repE0EEENS1_30default_config_static_selectorELNS0_4arch9wavefront6targetE0EEEvT1_
; %bb.0:
	.section	.rodata,"a",@progbits
	.p2align	6, 0x0
	.amdhsa_kernel _ZN7rocprim17ROCPRIM_400000_NS6detail17trampoline_kernelINS0_14default_configENS1_20scan_config_selectorIjEEZZNS1_9scan_implILNS1_25lookback_scan_determinismE0ELb1ELb1ES3_PjS8_jN6hipcub16HIPCUB_304000_NS3SumEjEEDaPvRmT3_T4_T5_mT6_P12ihipStream_tbENKUlT_T0_E_clISt17integral_constantIbLb0EESO_IbLb1EEEEDaSK_SL_EUlSK_E_NS1_11comp_targetILNS1_3genE4ELNS1_11target_archE910ELNS1_3gpuE8ELNS1_3repE0EEENS1_30default_config_static_selectorELNS0_4arch9wavefront6targetE0EEEvT1_
		.amdhsa_group_segment_fixed_size 0
		.amdhsa_private_segment_fixed_size 0
		.amdhsa_kernarg_size 96
		.amdhsa_user_sgpr_count 2
		.amdhsa_user_sgpr_dispatch_ptr 0
		.amdhsa_user_sgpr_queue_ptr 0
		.amdhsa_user_sgpr_kernarg_segment_ptr 1
		.amdhsa_user_sgpr_dispatch_id 0
		.amdhsa_user_sgpr_kernarg_preload_length 0
		.amdhsa_user_sgpr_kernarg_preload_offset 0
		.amdhsa_user_sgpr_private_segment_size 0
		.amdhsa_wavefront_size32 1
		.amdhsa_uses_dynamic_stack 0
		.amdhsa_enable_private_segment 0
		.amdhsa_system_sgpr_workgroup_id_x 1
		.amdhsa_system_sgpr_workgroup_id_y 0
		.amdhsa_system_sgpr_workgroup_id_z 0
		.amdhsa_system_sgpr_workgroup_info 0
		.amdhsa_system_vgpr_workitem_id 0
		.amdhsa_next_free_vgpr 1
		.amdhsa_next_free_sgpr 1
		.amdhsa_named_barrier_count 0
		.amdhsa_reserve_vcc 0
		.amdhsa_float_round_mode_32 0
		.amdhsa_float_round_mode_16_64 0
		.amdhsa_float_denorm_mode_32 3
		.amdhsa_float_denorm_mode_16_64 3
		.amdhsa_fp16_overflow 0
		.amdhsa_memory_ordered 1
		.amdhsa_forward_progress 1
		.amdhsa_inst_pref_size 0
		.amdhsa_round_robin_scheduling 0
		.amdhsa_exception_fp_ieee_invalid_op 0
		.amdhsa_exception_fp_denorm_src 0
		.amdhsa_exception_fp_ieee_div_zero 0
		.amdhsa_exception_fp_ieee_overflow 0
		.amdhsa_exception_fp_ieee_underflow 0
		.amdhsa_exception_fp_ieee_inexact 0
		.amdhsa_exception_int_div_zero 0
	.end_amdhsa_kernel
	.section	.text._ZN7rocprim17ROCPRIM_400000_NS6detail17trampoline_kernelINS0_14default_configENS1_20scan_config_selectorIjEEZZNS1_9scan_implILNS1_25lookback_scan_determinismE0ELb1ELb1ES3_PjS8_jN6hipcub16HIPCUB_304000_NS3SumEjEEDaPvRmT3_T4_T5_mT6_P12ihipStream_tbENKUlT_T0_E_clISt17integral_constantIbLb0EESO_IbLb1EEEEDaSK_SL_EUlSK_E_NS1_11comp_targetILNS1_3genE4ELNS1_11target_archE910ELNS1_3gpuE8ELNS1_3repE0EEENS1_30default_config_static_selectorELNS0_4arch9wavefront6targetE0EEEvT1_,"axG",@progbits,_ZN7rocprim17ROCPRIM_400000_NS6detail17trampoline_kernelINS0_14default_configENS1_20scan_config_selectorIjEEZZNS1_9scan_implILNS1_25lookback_scan_determinismE0ELb1ELb1ES3_PjS8_jN6hipcub16HIPCUB_304000_NS3SumEjEEDaPvRmT3_T4_T5_mT6_P12ihipStream_tbENKUlT_T0_E_clISt17integral_constantIbLb0EESO_IbLb1EEEEDaSK_SL_EUlSK_E_NS1_11comp_targetILNS1_3genE4ELNS1_11target_archE910ELNS1_3gpuE8ELNS1_3repE0EEENS1_30default_config_static_selectorELNS0_4arch9wavefront6targetE0EEEvT1_,comdat
.Lfunc_end69:
	.size	_ZN7rocprim17ROCPRIM_400000_NS6detail17trampoline_kernelINS0_14default_configENS1_20scan_config_selectorIjEEZZNS1_9scan_implILNS1_25lookback_scan_determinismE0ELb1ELb1ES3_PjS8_jN6hipcub16HIPCUB_304000_NS3SumEjEEDaPvRmT3_T4_T5_mT6_P12ihipStream_tbENKUlT_T0_E_clISt17integral_constantIbLb0EESO_IbLb1EEEEDaSK_SL_EUlSK_E_NS1_11comp_targetILNS1_3genE4ELNS1_11target_archE910ELNS1_3gpuE8ELNS1_3repE0EEENS1_30default_config_static_selectorELNS0_4arch9wavefront6targetE0EEEvT1_, .Lfunc_end69-_ZN7rocprim17ROCPRIM_400000_NS6detail17trampoline_kernelINS0_14default_configENS1_20scan_config_selectorIjEEZZNS1_9scan_implILNS1_25lookback_scan_determinismE0ELb1ELb1ES3_PjS8_jN6hipcub16HIPCUB_304000_NS3SumEjEEDaPvRmT3_T4_T5_mT6_P12ihipStream_tbENKUlT_T0_E_clISt17integral_constantIbLb0EESO_IbLb1EEEEDaSK_SL_EUlSK_E_NS1_11comp_targetILNS1_3genE4ELNS1_11target_archE910ELNS1_3gpuE8ELNS1_3repE0EEENS1_30default_config_static_selectorELNS0_4arch9wavefront6targetE0EEEvT1_
                                        ; -- End function
	.set _ZN7rocprim17ROCPRIM_400000_NS6detail17trampoline_kernelINS0_14default_configENS1_20scan_config_selectorIjEEZZNS1_9scan_implILNS1_25lookback_scan_determinismE0ELb1ELb1ES3_PjS8_jN6hipcub16HIPCUB_304000_NS3SumEjEEDaPvRmT3_T4_T5_mT6_P12ihipStream_tbENKUlT_T0_E_clISt17integral_constantIbLb0EESO_IbLb1EEEEDaSK_SL_EUlSK_E_NS1_11comp_targetILNS1_3genE4ELNS1_11target_archE910ELNS1_3gpuE8ELNS1_3repE0EEENS1_30default_config_static_selectorELNS0_4arch9wavefront6targetE0EEEvT1_.num_vgpr, 0
	.set _ZN7rocprim17ROCPRIM_400000_NS6detail17trampoline_kernelINS0_14default_configENS1_20scan_config_selectorIjEEZZNS1_9scan_implILNS1_25lookback_scan_determinismE0ELb1ELb1ES3_PjS8_jN6hipcub16HIPCUB_304000_NS3SumEjEEDaPvRmT3_T4_T5_mT6_P12ihipStream_tbENKUlT_T0_E_clISt17integral_constantIbLb0EESO_IbLb1EEEEDaSK_SL_EUlSK_E_NS1_11comp_targetILNS1_3genE4ELNS1_11target_archE910ELNS1_3gpuE8ELNS1_3repE0EEENS1_30default_config_static_selectorELNS0_4arch9wavefront6targetE0EEEvT1_.num_agpr, 0
	.set _ZN7rocprim17ROCPRIM_400000_NS6detail17trampoline_kernelINS0_14default_configENS1_20scan_config_selectorIjEEZZNS1_9scan_implILNS1_25lookback_scan_determinismE0ELb1ELb1ES3_PjS8_jN6hipcub16HIPCUB_304000_NS3SumEjEEDaPvRmT3_T4_T5_mT6_P12ihipStream_tbENKUlT_T0_E_clISt17integral_constantIbLb0EESO_IbLb1EEEEDaSK_SL_EUlSK_E_NS1_11comp_targetILNS1_3genE4ELNS1_11target_archE910ELNS1_3gpuE8ELNS1_3repE0EEENS1_30default_config_static_selectorELNS0_4arch9wavefront6targetE0EEEvT1_.numbered_sgpr, 0
	.set _ZN7rocprim17ROCPRIM_400000_NS6detail17trampoline_kernelINS0_14default_configENS1_20scan_config_selectorIjEEZZNS1_9scan_implILNS1_25lookback_scan_determinismE0ELb1ELb1ES3_PjS8_jN6hipcub16HIPCUB_304000_NS3SumEjEEDaPvRmT3_T4_T5_mT6_P12ihipStream_tbENKUlT_T0_E_clISt17integral_constantIbLb0EESO_IbLb1EEEEDaSK_SL_EUlSK_E_NS1_11comp_targetILNS1_3genE4ELNS1_11target_archE910ELNS1_3gpuE8ELNS1_3repE0EEENS1_30default_config_static_selectorELNS0_4arch9wavefront6targetE0EEEvT1_.num_named_barrier, 0
	.set _ZN7rocprim17ROCPRIM_400000_NS6detail17trampoline_kernelINS0_14default_configENS1_20scan_config_selectorIjEEZZNS1_9scan_implILNS1_25lookback_scan_determinismE0ELb1ELb1ES3_PjS8_jN6hipcub16HIPCUB_304000_NS3SumEjEEDaPvRmT3_T4_T5_mT6_P12ihipStream_tbENKUlT_T0_E_clISt17integral_constantIbLb0EESO_IbLb1EEEEDaSK_SL_EUlSK_E_NS1_11comp_targetILNS1_3genE4ELNS1_11target_archE910ELNS1_3gpuE8ELNS1_3repE0EEENS1_30default_config_static_selectorELNS0_4arch9wavefront6targetE0EEEvT1_.private_seg_size, 0
	.set _ZN7rocprim17ROCPRIM_400000_NS6detail17trampoline_kernelINS0_14default_configENS1_20scan_config_selectorIjEEZZNS1_9scan_implILNS1_25lookback_scan_determinismE0ELb1ELb1ES3_PjS8_jN6hipcub16HIPCUB_304000_NS3SumEjEEDaPvRmT3_T4_T5_mT6_P12ihipStream_tbENKUlT_T0_E_clISt17integral_constantIbLb0EESO_IbLb1EEEEDaSK_SL_EUlSK_E_NS1_11comp_targetILNS1_3genE4ELNS1_11target_archE910ELNS1_3gpuE8ELNS1_3repE0EEENS1_30default_config_static_selectorELNS0_4arch9wavefront6targetE0EEEvT1_.uses_vcc, 0
	.set _ZN7rocprim17ROCPRIM_400000_NS6detail17trampoline_kernelINS0_14default_configENS1_20scan_config_selectorIjEEZZNS1_9scan_implILNS1_25lookback_scan_determinismE0ELb1ELb1ES3_PjS8_jN6hipcub16HIPCUB_304000_NS3SumEjEEDaPvRmT3_T4_T5_mT6_P12ihipStream_tbENKUlT_T0_E_clISt17integral_constantIbLb0EESO_IbLb1EEEEDaSK_SL_EUlSK_E_NS1_11comp_targetILNS1_3genE4ELNS1_11target_archE910ELNS1_3gpuE8ELNS1_3repE0EEENS1_30default_config_static_selectorELNS0_4arch9wavefront6targetE0EEEvT1_.uses_flat_scratch, 0
	.set _ZN7rocprim17ROCPRIM_400000_NS6detail17trampoline_kernelINS0_14default_configENS1_20scan_config_selectorIjEEZZNS1_9scan_implILNS1_25lookback_scan_determinismE0ELb1ELb1ES3_PjS8_jN6hipcub16HIPCUB_304000_NS3SumEjEEDaPvRmT3_T4_T5_mT6_P12ihipStream_tbENKUlT_T0_E_clISt17integral_constantIbLb0EESO_IbLb1EEEEDaSK_SL_EUlSK_E_NS1_11comp_targetILNS1_3genE4ELNS1_11target_archE910ELNS1_3gpuE8ELNS1_3repE0EEENS1_30default_config_static_selectorELNS0_4arch9wavefront6targetE0EEEvT1_.has_dyn_sized_stack, 0
	.set _ZN7rocprim17ROCPRIM_400000_NS6detail17trampoline_kernelINS0_14default_configENS1_20scan_config_selectorIjEEZZNS1_9scan_implILNS1_25lookback_scan_determinismE0ELb1ELb1ES3_PjS8_jN6hipcub16HIPCUB_304000_NS3SumEjEEDaPvRmT3_T4_T5_mT6_P12ihipStream_tbENKUlT_T0_E_clISt17integral_constantIbLb0EESO_IbLb1EEEEDaSK_SL_EUlSK_E_NS1_11comp_targetILNS1_3genE4ELNS1_11target_archE910ELNS1_3gpuE8ELNS1_3repE0EEENS1_30default_config_static_selectorELNS0_4arch9wavefront6targetE0EEEvT1_.has_recursion, 0
	.set _ZN7rocprim17ROCPRIM_400000_NS6detail17trampoline_kernelINS0_14default_configENS1_20scan_config_selectorIjEEZZNS1_9scan_implILNS1_25lookback_scan_determinismE0ELb1ELb1ES3_PjS8_jN6hipcub16HIPCUB_304000_NS3SumEjEEDaPvRmT3_T4_T5_mT6_P12ihipStream_tbENKUlT_T0_E_clISt17integral_constantIbLb0EESO_IbLb1EEEEDaSK_SL_EUlSK_E_NS1_11comp_targetILNS1_3genE4ELNS1_11target_archE910ELNS1_3gpuE8ELNS1_3repE0EEENS1_30default_config_static_selectorELNS0_4arch9wavefront6targetE0EEEvT1_.has_indirect_call, 0
	.section	.AMDGPU.csdata,"",@progbits
; Kernel info:
; codeLenInByte = 0
; TotalNumSgprs: 0
; NumVgprs: 0
; ScratchSize: 0
; MemoryBound: 0
; FloatMode: 240
; IeeeMode: 1
; LDSByteSize: 0 bytes/workgroup (compile time only)
; SGPRBlocks: 0
; VGPRBlocks: 0
; NumSGPRsForWavesPerEU: 1
; NumVGPRsForWavesPerEU: 1
; NamedBarCnt: 0
; Occupancy: 16
; WaveLimiterHint : 0
; COMPUTE_PGM_RSRC2:SCRATCH_EN: 0
; COMPUTE_PGM_RSRC2:USER_SGPR: 2
; COMPUTE_PGM_RSRC2:TRAP_HANDLER: 0
; COMPUTE_PGM_RSRC2:TGID_X_EN: 1
; COMPUTE_PGM_RSRC2:TGID_Y_EN: 0
; COMPUTE_PGM_RSRC2:TGID_Z_EN: 0
; COMPUTE_PGM_RSRC2:TIDIG_COMP_CNT: 0
	.section	.text._ZN7rocprim17ROCPRIM_400000_NS6detail17trampoline_kernelINS0_14default_configENS1_20scan_config_selectorIjEEZZNS1_9scan_implILNS1_25lookback_scan_determinismE0ELb1ELb1ES3_PjS8_jN6hipcub16HIPCUB_304000_NS3SumEjEEDaPvRmT3_T4_T5_mT6_P12ihipStream_tbENKUlT_T0_E_clISt17integral_constantIbLb0EESO_IbLb1EEEEDaSK_SL_EUlSK_E_NS1_11comp_targetILNS1_3genE3ELNS1_11target_archE908ELNS1_3gpuE7ELNS1_3repE0EEENS1_30default_config_static_selectorELNS0_4arch9wavefront6targetE0EEEvT1_,"axG",@progbits,_ZN7rocprim17ROCPRIM_400000_NS6detail17trampoline_kernelINS0_14default_configENS1_20scan_config_selectorIjEEZZNS1_9scan_implILNS1_25lookback_scan_determinismE0ELb1ELb1ES3_PjS8_jN6hipcub16HIPCUB_304000_NS3SumEjEEDaPvRmT3_T4_T5_mT6_P12ihipStream_tbENKUlT_T0_E_clISt17integral_constantIbLb0EESO_IbLb1EEEEDaSK_SL_EUlSK_E_NS1_11comp_targetILNS1_3genE3ELNS1_11target_archE908ELNS1_3gpuE7ELNS1_3repE0EEENS1_30default_config_static_selectorELNS0_4arch9wavefront6targetE0EEEvT1_,comdat
	.protected	_ZN7rocprim17ROCPRIM_400000_NS6detail17trampoline_kernelINS0_14default_configENS1_20scan_config_selectorIjEEZZNS1_9scan_implILNS1_25lookback_scan_determinismE0ELb1ELb1ES3_PjS8_jN6hipcub16HIPCUB_304000_NS3SumEjEEDaPvRmT3_T4_T5_mT6_P12ihipStream_tbENKUlT_T0_E_clISt17integral_constantIbLb0EESO_IbLb1EEEEDaSK_SL_EUlSK_E_NS1_11comp_targetILNS1_3genE3ELNS1_11target_archE908ELNS1_3gpuE7ELNS1_3repE0EEENS1_30default_config_static_selectorELNS0_4arch9wavefront6targetE0EEEvT1_ ; -- Begin function _ZN7rocprim17ROCPRIM_400000_NS6detail17trampoline_kernelINS0_14default_configENS1_20scan_config_selectorIjEEZZNS1_9scan_implILNS1_25lookback_scan_determinismE0ELb1ELb1ES3_PjS8_jN6hipcub16HIPCUB_304000_NS3SumEjEEDaPvRmT3_T4_T5_mT6_P12ihipStream_tbENKUlT_T0_E_clISt17integral_constantIbLb0EESO_IbLb1EEEEDaSK_SL_EUlSK_E_NS1_11comp_targetILNS1_3genE3ELNS1_11target_archE908ELNS1_3gpuE7ELNS1_3repE0EEENS1_30default_config_static_selectorELNS0_4arch9wavefront6targetE0EEEvT1_
	.globl	_ZN7rocprim17ROCPRIM_400000_NS6detail17trampoline_kernelINS0_14default_configENS1_20scan_config_selectorIjEEZZNS1_9scan_implILNS1_25lookback_scan_determinismE0ELb1ELb1ES3_PjS8_jN6hipcub16HIPCUB_304000_NS3SumEjEEDaPvRmT3_T4_T5_mT6_P12ihipStream_tbENKUlT_T0_E_clISt17integral_constantIbLb0EESO_IbLb1EEEEDaSK_SL_EUlSK_E_NS1_11comp_targetILNS1_3genE3ELNS1_11target_archE908ELNS1_3gpuE7ELNS1_3repE0EEENS1_30default_config_static_selectorELNS0_4arch9wavefront6targetE0EEEvT1_
	.p2align	8
	.type	_ZN7rocprim17ROCPRIM_400000_NS6detail17trampoline_kernelINS0_14default_configENS1_20scan_config_selectorIjEEZZNS1_9scan_implILNS1_25lookback_scan_determinismE0ELb1ELb1ES3_PjS8_jN6hipcub16HIPCUB_304000_NS3SumEjEEDaPvRmT3_T4_T5_mT6_P12ihipStream_tbENKUlT_T0_E_clISt17integral_constantIbLb0EESO_IbLb1EEEEDaSK_SL_EUlSK_E_NS1_11comp_targetILNS1_3genE3ELNS1_11target_archE908ELNS1_3gpuE7ELNS1_3repE0EEENS1_30default_config_static_selectorELNS0_4arch9wavefront6targetE0EEEvT1_,@function
_ZN7rocprim17ROCPRIM_400000_NS6detail17trampoline_kernelINS0_14default_configENS1_20scan_config_selectorIjEEZZNS1_9scan_implILNS1_25lookback_scan_determinismE0ELb1ELb1ES3_PjS8_jN6hipcub16HIPCUB_304000_NS3SumEjEEDaPvRmT3_T4_T5_mT6_P12ihipStream_tbENKUlT_T0_E_clISt17integral_constantIbLb0EESO_IbLb1EEEEDaSK_SL_EUlSK_E_NS1_11comp_targetILNS1_3genE3ELNS1_11target_archE908ELNS1_3gpuE7ELNS1_3repE0EEENS1_30default_config_static_selectorELNS0_4arch9wavefront6targetE0EEEvT1_: ; @_ZN7rocprim17ROCPRIM_400000_NS6detail17trampoline_kernelINS0_14default_configENS1_20scan_config_selectorIjEEZZNS1_9scan_implILNS1_25lookback_scan_determinismE0ELb1ELb1ES3_PjS8_jN6hipcub16HIPCUB_304000_NS3SumEjEEDaPvRmT3_T4_T5_mT6_P12ihipStream_tbENKUlT_T0_E_clISt17integral_constantIbLb0EESO_IbLb1EEEEDaSK_SL_EUlSK_E_NS1_11comp_targetILNS1_3genE3ELNS1_11target_archE908ELNS1_3gpuE7ELNS1_3repE0EEENS1_30default_config_static_selectorELNS0_4arch9wavefront6targetE0EEEvT1_
; %bb.0:
	.section	.rodata,"a",@progbits
	.p2align	6, 0x0
	.amdhsa_kernel _ZN7rocprim17ROCPRIM_400000_NS6detail17trampoline_kernelINS0_14default_configENS1_20scan_config_selectorIjEEZZNS1_9scan_implILNS1_25lookback_scan_determinismE0ELb1ELb1ES3_PjS8_jN6hipcub16HIPCUB_304000_NS3SumEjEEDaPvRmT3_T4_T5_mT6_P12ihipStream_tbENKUlT_T0_E_clISt17integral_constantIbLb0EESO_IbLb1EEEEDaSK_SL_EUlSK_E_NS1_11comp_targetILNS1_3genE3ELNS1_11target_archE908ELNS1_3gpuE7ELNS1_3repE0EEENS1_30default_config_static_selectorELNS0_4arch9wavefront6targetE0EEEvT1_
		.amdhsa_group_segment_fixed_size 0
		.amdhsa_private_segment_fixed_size 0
		.amdhsa_kernarg_size 96
		.amdhsa_user_sgpr_count 2
		.amdhsa_user_sgpr_dispatch_ptr 0
		.amdhsa_user_sgpr_queue_ptr 0
		.amdhsa_user_sgpr_kernarg_segment_ptr 1
		.amdhsa_user_sgpr_dispatch_id 0
		.amdhsa_user_sgpr_kernarg_preload_length 0
		.amdhsa_user_sgpr_kernarg_preload_offset 0
		.amdhsa_user_sgpr_private_segment_size 0
		.amdhsa_wavefront_size32 1
		.amdhsa_uses_dynamic_stack 0
		.amdhsa_enable_private_segment 0
		.amdhsa_system_sgpr_workgroup_id_x 1
		.amdhsa_system_sgpr_workgroup_id_y 0
		.amdhsa_system_sgpr_workgroup_id_z 0
		.amdhsa_system_sgpr_workgroup_info 0
		.amdhsa_system_vgpr_workitem_id 0
		.amdhsa_next_free_vgpr 1
		.amdhsa_next_free_sgpr 1
		.amdhsa_named_barrier_count 0
		.amdhsa_reserve_vcc 0
		.amdhsa_float_round_mode_32 0
		.amdhsa_float_round_mode_16_64 0
		.amdhsa_float_denorm_mode_32 3
		.amdhsa_float_denorm_mode_16_64 3
		.amdhsa_fp16_overflow 0
		.amdhsa_memory_ordered 1
		.amdhsa_forward_progress 1
		.amdhsa_inst_pref_size 0
		.amdhsa_round_robin_scheduling 0
		.amdhsa_exception_fp_ieee_invalid_op 0
		.amdhsa_exception_fp_denorm_src 0
		.amdhsa_exception_fp_ieee_div_zero 0
		.amdhsa_exception_fp_ieee_overflow 0
		.amdhsa_exception_fp_ieee_underflow 0
		.amdhsa_exception_fp_ieee_inexact 0
		.amdhsa_exception_int_div_zero 0
	.end_amdhsa_kernel
	.section	.text._ZN7rocprim17ROCPRIM_400000_NS6detail17trampoline_kernelINS0_14default_configENS1_20scan_config_selectorIjEEZZNS1_9scan_implILNS1_25lookback_scan_determinismE0ELb1ELb1ES3_PjS8_jN6hipcub16HIPCUB_304000_NS3SumEjEEDaPvRmT3_T4_T5_mT6_P12ihipStream_tbENKUlT_T0_E_clISt17integral_constantIbLb0EESO_IbLb1EEEEDaSK_SL_EUlSK_E_NS1_11comp_targetILNS1_3genE3ELNS1_11target_archE908ELNS1_3gpuE7ELNS1_3repE0EEENS1_30default_config_static_selectorELNS0_4arch9wavefront6targetE0EEEvT1_,"axG",@progbits,_ZN7rocprim17ROCPRIM_400000_NS6detail17trampoline_kernelINS0_14default_configENS1_20scan_config_selectorIjEEZZNS1_9scan_implILNS1_25lookback_scan_determinismE0ELb1ELb1ES3_PjS8_jN6hipcub16HIPCUB_304000_NS3SumEjEEDaPvRmT3_T4_T5_mT6_P12ihipStream_tbENKUlT_T0_E_clISt17integral_constantIbLb0EESO_IbLb1EEEEDaSK_SL_EUlSK_E_NS1_11comp_targetILNS1_3genE3ELNS1_11target_archE908ELNS1_3gpuE7ELNS1_3repE0EEENS1_30default_config_static_selectorELNS0_4arch9wavefront6targetE0EEEvT1_,comdat
.Lfunc_end70:
	.size	_ZN7rocprim17ROCPRIM_400000_NS6detail17trampoline_kernelINS0_14default_configENS1_20scan_config_selectorIjEEZZNS1_9scan_implILNS1_25lookback_scan_determinismE0ELb1ELb1ES3_PjS8_jN6hipcub16HIPCUB_304000_NS3SumEjEEDaPvRmT3_T4_T5_mT6_P12ihipStream_tbENKUlT_T0_E_clISt17integral_constantIbLb0EESO_IbLb1EEEEDaSK_SL_EUlSK_E_NS1_11comp_targetILNS1_3genE3ELNS1_11target_archE908ELNS1_3gpuE7ELNS1_3repE0EEENS1_30default_config_static_selectorELNS0_4arch9wavefront6targetE0EEEvT1_, .Lfunc_end70-_ZN7rocprim17ROCPRIM_400000_NS6detail17trampoline_kernelINS0_14default_configENS1_20scan_config_selectorIjEEZZNS1_9scan_implILNS1_25lookback_scan_determinismE0ELb1ELb1ES3_PjS8_jN6hipcub16HIPCUB_304000_NS3SumEjEEDaPvRmT3_T4_T5_mT6_P12ihipStream_tbENKUlT_T0_E_clISt17integral_constantIbLb0EESO_IbLb1EEEEDaSK_SL_EUlSK_E_NS1_11comp_targetILNS1_3genE3ELNS1_11target_archE908ELNS1_3gpuE7ELNS1_3repE0EEENS1_30default_config_static_selectorELNS0_4arch9wavefront6targetE0EEEvT1_
                                        ; -- End function
	.set _ZN7rocprim17ROCPRIM_400000_NS6detail17trampoline_kernelINS0_14default_configENS1_20scan_config_selectorIjEEZZNS1_9scan_implILNS1_25lookback_scan_determinismE0ELb1ELb1ES3_PjS8_jN6hipcub16HIPCUB_304000_NS3SumEjEEDaPvRmT3_T4_T5_mT6_P12ihipStream_tbENKUlT_T0_E_clISt17integral_constantIbLb0EESO_IbLb1EEEEDaSK_SL_EUlSK_E_NS1_11comp_targetILNS1_3genE3ELNS1_11target_archE908ELNS1_3gpuE7ELNS1_3repE0EEENS1_30default_config_static_selectorELNS0_4arch9wavefront6targetE0EEEvT1_.num_vgpr, 0
	.set _ZN7rocprim17ROCPRIM_400000_NS6detail17trampoline_kernelINS0_14default_configENS1_20scan_config_selectorIjEEZZNS1_9scan_implILNS1_25lookback_scan_determinismE0ELb1ELb1ES3_PjS8_jN6hipcub16HIPCUB_304000_NS3SumEjEEDaPvRmT3_T4_T5_mT6_P12ihipStream_tbENKUlT_T0_E_clISt17integral_constantIbLb0EESO_IbLb1EEEEDaSK_SL_EUlSK_E_NS1_11comp_targetILNS1_3genE3ELNS1_11target_archE908ELNS1_3gpuE7ELNS1_3repE0EEENS1_30default_config_static_selectorELNS0_4arch9wavefront6targetE0EEEvT1_.num_agpr, 0
	.set _ZN7rocprim17ROCPRIM_400000_NS6detail17trampoline_kernelINS0_14default_configENS1_20scan_config_selectorIjEEZZNS1_9scan_implILNS1_25lookback_scan_determinismE0ELb1ELb1ES3_PjS8_jN6hipcub16HIPCUB_304000_NS3SumEjEEDaPvRmT3_T4_T5_mT6_P12ihipStream_tbENKUlT_T0_E_clISt17integral_constantIbLb0EESO_IbLb1EEEEDaSK_SL_EUlSK_E_NS1_11comp_targetILNS1_3genE3ELNS1_11target_archE908ELNS1_3gpuE7ELNS1_3repE0EEENS1_30default_config_static_selectorELNS0_4arch9wavefront6targetE0EEEvT1_.numbered_sgpr, 0
	.set _ZN7rocprim17ROCPRIM_400000_NS6detail17trampoline_kernelINS0_14default_configENS1_20scan_config_selectorIjEEZZNS1_9scan_implILNS1_25lookback_scan_determinismE0ELb1ELb1ES3_PjS8_jN6hipcub16HIPCUB_304000_NS3SumEjEEDaPvRmT3_T4_T5_mT6_P12ihipStream_tbENKUlT_T0_E_clISt17integral_constantIbLb0EESO_IbLb1EEEEDaSK_SL_EUlSK_E_NS1_11comp_targetILNS1_3genE3ELNS1_11target_archE908ELNS1_3gpuE7ELNS1_3repE0EEENS1_30default_config_static_selectorELNS0_4arch9wavefront6targetE0EEEvT1_.num_named_barrier, 0
	.set _ZN7rocprim17ROCPRIM_400000_NS6detail17trampoline_kernelINS0_14default_configENS1_20scan_config_selectorIjEEZZNS1_9scan_implILNS1_25lookback_scan_determinismE0ELb1ELb1ES3_PjS8_jN6hipcub16HIPCUB_304000_NS3SumEjEEDaPvRmT3_T4_T5_mT6_P12ihipStream_tbENKUlT_T0_E_clISt17integral_constantIbLb0EESO_IbLb1EEEEDaSK_SL_EUlSK_E_NS1_11comp_targetILNS1_3genE3ELNS1_11target_archE908ELNS1_3gpuE7ELNS1_3repE0EEENS1_30default_config_static_selectorELNS0_4arch9wavefront6targetE0EEEvT1_.private_seg_size, 0
	.set _ZN7rocprim17ROCPRIM_400000_NS6detail17trampoline_kernelINS0_14default_configENS1_20scan_config_selectorIjEEZZNS1_9scan_implILNS1_25lookback_scan_determinismE0ELb1ELb1ES3_PjS8_jN6hipcub16HIPCUB_304000_NS3SumEjEEDaPvRmT3_T4_T5_mT6_P12ihipStream_tbENKUlT_T0_E_clISt17integral_constantIbLb0EESO_IbLb1EEEEDaSK_SL_EUlSK_E_NS1_11comp_targetILNS1_3genE3ELNS1_11target_archE908ELNS1_3gpuE7ELNS1_3repE0EEENS1_30default_config_static_selectorELNS0_4arch9wavefront6targetE0EEEvT1_.uses_vcc, 0
	.set _ZN7rocprim17ROCPRIM_400000_NS6detail17trampoline_kernelINS0_14default_configENS1_20scan_config_selectorIjEEZZNS1_9scan_implILNS1_25lookback_scan_determinismE0ELb1ELb1ES3_PjS8_jN6hipcub16HIPCUB_304000_NS3SumEjEEDaPvRmT3_T4_T5_mT6_P12ihipStream_tbENKUlT_T0_E_clISt17integral_constantIbLb0EESO_IbLb1EEEEDaSK_SL_EUlSK_E_NS1_11comp_targetILNS1_3genE3ELNS1_11target_archE908ELNS1_3gpuE7ELNS1_3repE0EEENS1_30default_config_static_selectorELNS0_4arch9wavefront6targetE0EEEvT1_.uses_flat_scratch, 0
	.set _ZN7rocprim17ROCPRIM_400000_NS6detail17trampoline_kernelINS0_14default_configENS1_20scan_config_selectorIjEEZZNS1_9scan_implILNS1_25lookback_scan_determinismE0ELb1ELb1ES3_PjS8_jN6hipcub16HIPCUB_304000_NS3SumEjEEDaPvRmT3_T4_T5_mT6_P12ihipStream_tbENKUlT_T0_E_clISt17integral_constantIbLb0EESO_IbLb1EEEEDaSK_SL_EUlSK_E_NS1_11comp_targetILNS1_3genE3ELNS1_11target_archE908ELNS1_3gpuE7ELNS1_3repE0EEENS1_30default_config_static_selectorELNS0_4arch9wavefront6targetE0EEEvT1_.has_dyn_sized_stack, 0
	.set _ZN7rocprim17ROCPRIM_400000_NS6detail17trampoline_kernelINS0_14default_configENS1_20scan_config_selectorIjEEZZNS1_9scan_implILNS1_25lookback_scan_determinismE0ELb1ELb1ES3_PjS8_jN6hipcub16HIPCUB_304000_NS3SumEjEEDaPvRmT3_T4_T5_mT6_P12ihipStream_tbENKUlT_T0_E_clISt17integral_constantIbLb0EESO_IbLb1EEEEDaSK_SL_EUlSK_E_NS1_11comp_targetILNS1_3genE3ELNS1_11target_archE908ELNS1_3gpuE7ELNS1_3repE0EEENS1_30default_config_static_selectorELNS0_4arch9wavefront6targetE0EEEvT1_.has_recursion, 0
	.set _ZN7rocprim17ROCPRIM_400000_NS6detail17trampoline_kernelINS0_14default_configENS1_20scan_config_selectorIjEEZZNS1_9scan_implILNS1_25lookback_scan_determinismE0ELb1ELb1ES3_PjS8_jN6hipcub16HIPCUB_304000_NS3SumEjEEDaPvRmT3_T4_T5_mT6_P12ihipStream_tbENKUlT_T0_E_clISt17integral_constantIbLb0EESO_IbLb1EEEEDaSK_SL_EUlSK_E_NS1_11comp_targetILNS1_3genE3ELNS1_11target_archE908ELNS1_3gpuE7ELNS1_3repE0EEENS1_30default_config_static_selectorELNS0_4arch9wavefront6targetE0EEEvT1_.has_indirect_call, 0
	.section	.AMDGPU.csdata,"",@progbits
; Kernel info:
; codeLenInByte = 0
; TotalNumSgprs: 0
; NumVgprs: 0
; ScratchSize: 0
; MemoryBound: 0
; FloatMode: 240
; IeeeMode: 1
; LDSByteSize: 0 bytes/workgroup (compile time only)
; SGPRBlocks: 0
; VGPRBlocks: 0
; NumSGPRsForWavesPerEU: 1
; NumVGPRsForWavesPerEU: 1
; NamedBarCnt: 0
; Occupancy: 16
; WaveLimiterHint : 0
; COMPUTE_PGM_RSRC2:SCRATCH_EN: 0
; COMPUTE_PGM_RSRC2:USER_SGPR: 2
; COMPUTE_PGM_RSRC2:TRAP_HANDLER: 0
; COMPUTE_PGM_RSRC2:TGID_X_EN: 1
; COMPUTE_PGM_RSRC2:TGID_Y_EN: 0
; COMPUTE_PGM_RSRC2:TGID_Z_EN: 0
; COMPUTE_PGM_RSRC2:TIDIG_COMP_CNT: 0
	.section	.text._ZN7rocprim17ROCPRIM_400000_NS6detail17trampoline_kernelINS0_14default_configENS1_20scan_config_selectorIjEEZZNS1_9scan_implILNS1_25lookback_scan_determinismE0ELb1ELb1ES3_PjS8_jN6hipcub16HIPCUB_304000_NS3SumEjEEDaPvRmT3_T4_T5_mT6_P12ihipStream_tbENKUlT_T0_E_clISt17integral_constantIbLb0EESO_IbLb1EEEEDaSK_SL_EUlSK_E_NS1_11comp_targetILNS1_3genE2ELNS1_11target_archE906ELNS1_3gpuE6ELNS1_3repE0EEENS1_30default_config_static_selectorELNS0_4arch9wavefront6targetE0EEEvT1_,"axG",@progbits,_ZN7rocprim17ROCPRIM_400000_NS6detail17trampoline_kernelINS0_14default_configENS1_20scan_config_selectorIjEEZZNS1_9scan_implILNS1_25lookback_scan_determinismE0ELb1ELb1ES3_PjS8_jN6hipcub16HIPCUB_304000_NS3SumEjEEDaPvRmT3_T4_T5_mT6_P12ihipStream_tbENKUlT_T0_E_clISt17integral_constantIbLb0EESO_IbLb1EEEEDaSK_SL_EUlSK_E_NS1_11comp_targetILNS1_3genE2ELNS1_11target_archE906ELNS1_3gpuE6ELNS1_3repE0EEENS1_30default_config_static_selectorELNS0_4arch9wavefront6targetE0EEEvT1_,comdat
	.protected	_ZN7rocprim17ROCPRIM_400000_NS6detail17trampoline_kernelINS0_14default_configENS1_20scan_config_selectorIjEEZZNS1_9scan_implILNS1_25lookback_scan_determinismE0ELb1ELb1ES3_PjS8_jN6hipcub16HIPCUB_304000_NS3SumEjEEDaPvRmT3_T4_T5_mT6_P12ihipStream_tbENKUlT_T0_E_clISt17integral_constantIbLb0EESO_IbLb1EEEEDaSK_SL_EUlSK_E_NS1_11comp_targetILNS1_3genE2ELNS1_11target_archE906ELNS1_3gpuE6ELNS1_3repE0EEENS1_30default_config_static_selectorELNS0_4arch9wavefront6targetE0EEEvT1_ ; -- Begin function _ZN7rocprim17ROCPRIM_400000_NS6detail17trampoline_kernelINS0_14default_configENS1_20scan_config_selectorIjEEZZNS1_9scan_implILNS1_25lookback_scan_determinismE0ELb1ELb1ES3_PjS8_jN6hipcub16HIPCUB_304000_NS3SumEjEEDaPvRmT3_T4_T5_mT6_P12ihipStream_tbENKUlT_T0_E_clISt17integral_constantIbLb0EESO_IbLb1EEEEDaSK_SL_EUlSK_E_NS1_11comp_targetILNS1_3genE2ELNS1_11target_archE906ELNS1_3gpuE6ELNS1_3repE0EEENS1_30default_config_static_selectorELNS0_4arch9wavefront6targetE0EEEvT1_
	.globl	_ZN7rocprim17ROCPRIM_400000_NS6detail17trampoline_kernelINS0_14default_configENS1_20scan_config_selectorIjEEZZNS1_9scan_implILNS1_25lookback_scan_determinismE0ELb1ELb1ES3_PjS8_jN6hipcub16HIPCUB_304000_NS3SumEjEEDaPvRmT3_T4_T5_mT6_P12ihipStream_tbENKUlT_T0_E_clISt17integral_constantIbLb0EESO_IbLb1EEEEDaSK_SL_EUlSK_E_NS1_11comp_targetILNS1_3genE2ELNS1_11target_archE906ELNS1_3gpuE6ELNS1_3repE0EEENS1_30default_config_static_selectorELNS0_4arch9wavefront6targetE0EEEvT1_
	.p2align	8
	.type	_ZN7rocprim17ROCPRIM_400000_NS6detail17trampoline_kernelINS0_14default_configENS1_20scan_config_selectorIjEEZZNS1_9scan_implILNS1_25lookback_scan_determinismE0ELb1ELb1ES3_PjS8_jN6hipcub16HIPCUB_304000_NS3SumEjEEDaPvRmT3_T4_T5_mT6_P12ihipStream_tbENKUlT_T0_E_clISt17integral_constantIbLb0EESO_IbLb1EEEEDaSK_SL_EUlSK_E_NS1_11comp_targetILNS1_3genE2ELNS1_11target_archE906ELNS1_3gpuE6ELNS1_3repE0EEENS1_30default_config_static_selectorELNS0_4arch9wavefront6targetE0EEEvT1_,@function
_ZN7rocprim17ROCPRIM_400000_NS6detail17trampoline_kernelINS0_14default_configENS1_20scan_config_selectorIjEEZZNS1_9scan_implILNS1_25lookback_scan_determinismE0ELb1ELb1ES3_PjS8_jN6hipcub16HIPCUB_304000_NS3SumEjEEDaPvRmT3_T4_T5_mT6_P12ihipStream_tbENKUlT_T0_E_clISt17integral_constantIbLb0EESO_IbLb1EEEEDaSK_SL_EUlSK_E_NS1_11comp_targetILNS1_3genE2ELNS1_11target_archE906ELNS1_3gpuE6ELNS1_3repE0EEENS1_30default_config_static_selectorELNS0_4arch9wavefront6targetE0EEEvT1_: ; @_ZN7rocprim17ROCPRIM_400000_NS6detail17trampoline_kernelINS0_14default_configENS1_20scan_config_selectorIjEEZZNS1_9scan_implILNS1_25lookback_scan_determinismE0ELb1ELb1ES3_PjS8_jN6hipcub16HIPCUB_304000_NS3SumEjEEDaPvRmT3_T4_T5_mT6_P12ihipStream_tbENKUlT_T0_E_clISt17integral_constantIbLb0EESO_IbLb1EEEEDaSK_SL_EUlSK_E_NS1_11comp_targetILNS1_3genE2ELNS1_11target_archE906ELNS1_3gpuE6ELNS1_3repE0EEENS1_30default_config_static_selectorELNS0_4arch9wavefront6targetE0EEEvT1_
; %bb.0:
	.section	.rodata,"a",@progbits
	.p2align	6, 0x0
	.amdhsa_kernel _ZN7rocprim17ROCPRIM_400000_NS6detail17trampoline_kernelINS0_14default_configENS1_20scan_config_selectorIjEEZZNS1_9scan_implILNS1_25lookback_scan_determinismE0ELb1ELb1ES3_PjS8_jN6hipcub16HIPCUB_304000_NS3SumEjEEDaPvRmT3_T4_T5_mT6_P12ihipStream_tbENKUlT_T0_E_clISt17integral_constantIbLb0EESO_IbLb1EEEEDaSK_SL_EUlSK_E_NS1_11comp_targetILNS1_3genE2ELNS1_11target_archE906ELNS1_3gpuE6ELNS1_3repE0EEENS1_30default_config_static_selectorELNS0_4arch9wavefront6targetE0EEEvT1_
		.amdhsa_group_segment_fixed_size 0
		.amdhsa_private_segment_fixed_size 0
		.amdhsa_kernarg_size 96
		.amdhsa_user_sgpr_count 2
		.amdhsa_user_sgpr_dispatch_ptr 0
		.amdhsa_user_sgpr_queue_ptr 0
		.amdhsa_user_sgpr_kernarg_segment_ptr 1
		.amdhsa_user_sgpr_dispatch_id 0
		.amdhsa_user_sgpr_kernarg_preload_length 0
		.amdhsa_user_sgpr_kernarg_preload_offset 0
		.amdhsa_user_sgpr_private_segment_size 0
		.amdhsa_wavefront_size32 1
		.amdhsa_uses_dynamic_stack 0
		.amdhsa_enable_private_segment 0
		.amdhsa_system_sgpr_workgroup_id_x 1
		.amdhsa_system_sgpr_workgroup_id_y 0
		.amdhsa_system_sgpr_workgroup_id_z 0
		.amdhsa_system_sgpr_workgroup_info 0
		.amdhsa_system_vgpr_workitem_id 0
		.amdhsa_next_free_vgpr 1
		.amdhsa_next_free_sgpr 1
		.amdhsa_named_barrier_count 0
		.amdhsa_reserve_vcc 0
		.amdhsa_float_round_mode_32 0
		.amdhsa_float_round_mode_16_64 0
		.amdhsa_float_denorm_mode_32 3
		.amdhsa_float_denorm_mode_16_64 3
		.amdhsa_fp16_overflow 0
		.amdhsa_memory_ordered 1
		.amdhsa_forward_progress 1
		.amdhsa_inst_pref_size 0
		.amdhsa_round_robin_scheduling 0
		.amdhsa_exception_fp_ieee_invalid_op 0
		.amdhsa_exception_fp_denorm_src 0
		.amdhsa_exception_fp_ieee_div_zero 0
		.amdhsa_exception_fp_ieee_overflow 0
		.amdhsa_exception_fp_ieee_underflow 0
		.amdhsa_exception_fp_ieee_inexact 0
		.amdhsa_exception_int_div_zero 0
	.end_amdhsa_kernel
	.section	.text._ZN7rocprim17ROCPRIM_400000_NS6detail17trampoline_kernelINS0_14default_configENS1_20scan_config_selectorIjEEZZNS1_9scan_implILNS1_25lookback_scan_determinismE0ELb1ELb1ES3_PjS8_jN6hipcub16HIPCUB_304000_NS3SumEjEEDaPvRmT3_T4_T5_mT6_P12ihipStream_tbENKUlT_T0_E_clISt17integral_constantIbLb0EESO_IbLb1EEEEDaSK_SL_EUlSK_E_NS1_11comp_targetILNS1_3genE2ELNS1_11target_archE906ELNS1_3gpuE6ELNS1_3repE0EEENS1_30default_config_static_selectorELNS0_4arch9wavefront6targetE0EEEvT1_,"axG",@progbits,_ZN7rocprim17ROCPRIM_400000_NS6detail17trampoline_kernelINS0_14default_configENS1_20scan_config_selectorIjEEZZNS1_9scan_implILNS1_25lookback_scan_determinismE0ELb1ELb1ES3_PjS8_jN6hipcub16HIPCUB_304000_NS3SumEjEEDaPvRmT3_T4_T5_mT6_P12ihipStream_tbENKUlT_T0_E_clISt17integral_constantIbLb0EESO_IbLb1EEEEDaSK_SL_EUlSK_E_NS1_11comp_targetILNS1_3genE2ELNS1_11target_archE906ELNS1_3gpuE6ELNS1_3repE0EEENS1_30default_config_static_selectorELNS0_4arch9wavefront6targetE0EEEvT1_,comdat
.Lfunc_end71:
	.size	_ZN7rocprim17ROCPRIM_400000_NS6detail17trampoline_kernelINS0_14default_configENS1_20scan_config_selectorIjEEZZNS1_9scan_implILNS1_25lookback_scan_determinismE0ELb1ELb1ES3_PjS8_jN6hipcub16HIPCUB_304000_NS3SumEjEEDaPvRmT3_T4_T5_mT6_P12ihipStream_tbENKUlT_T0_E_clISt17integral_constantIbLb0EESO_IbLb1EEEEDaSK_SL_EUlSK_E_NS1_11comp_targetILNS1_3genE2ELNS1_11target_archE906ELNS1_3gpuE6ELNS1_3repE0EEENS1_30default_config_static_selectorELNS0_4arch9wavefront6targetE0EEEvT1_, .Lfunc_end71-_ZN7rocprim17ROCPRIM_400000_NS6detail17trampoline_kernelINS0_14default_configENS1_20scan_config_selectorIjEEZZNS1_9scan_implILNS1_25lookback_scan_determinismE0ELb1ELb1ES3_PjS8_jN6hipcub16HIPCUB_304000_NS3SumEjEEDaPvRmT3_T4_T5_mT6_P12ihipStream_tbENKUlT_T0_E_clISt17integral_constantIbLb0EESO_IbLb1EEEEDaSK_SL_EUlSK_E_NS1_11comp_targetILNS1_3genE2ELNS1_11target_archE906ELNS1_3gpuE6ELNS1_3repE0EEENS1_30default_config_static_selectorELNS0_4arch9wavefront6targetE0EEEvT1_
                                        ; -- End function
	.set _ZN7rocprim17ROCPRIM_400000_NS6detail17trampoline_kernelINS0_14default_configENS1_20scan_config_selectorIjEEZZNS1_9scan_implILNS1_25lookback_scan_determinismE0ELb1ELb1ES3_PjS8_jN6hipcub16HIPCUB_304000_NS3SumEjEEDaPvRmT3_T4_T5_mT6_P12ihipStream_tbENKUlT_T0_E_clISt17integral_constantIbLb0EESO_IbLb1EEEEDaSK_SL_EUlSK_E_NS1_11comp_targetILNS1_3genE2ELNS1_11target_archE906ELNS1_3gpuE6ELNS1_3repE0EEENS1_30default_config_static_selectorELNS0_4arch9wavefront6targetE0EEEvT1_.num_vgpr, 0
	.set _ZN7rocprim17ROCPRIM_400000_NS6detail17trampoline_kernelINS0_14default_configENS1_20scan_config_selectorIjEEZZNS1_9scan_implILNS1_25lookback_scan_determinismE0ELb1ELb1ES3_PjS8_jN6hipcub16HIPCUB_304000_NS3SumEjEEDaPvRmT3_T4_T5_mT6_P12ihipStream_tbENKUlT_T0_E_clISt17integral_constantIbLb0EESO_IbLb1EEEEDaSK_SL_EUlSK_E_NS1_11comp_targetILNS1_3genE2ELNS1_11target_archE906ELNS1_3gpuE6ELNS1_3repE0EEENS1_30default_config_static_selectorELNS0_4arch9wavefront6targetE0EEEvT1_.num_agpr, 0
	.set _ZN7rocprim17ROCPRIM_400000_NS6detail17trampoline_kernelINS0_14default_configENS1_20scan_config_selectorIjEEZZNS1_9scan_implILNS1_25lookback_scan_determinismE0ELb1ELb1ES3_PjS8_jN6hipcub16HIPCUB_304000_NS3SumEjEEDaPvRmT3_T4_T5_mT6_P12ihipStream_tbENKUlT_T0_E_clISt17integral_constantIbLb0EESO_IbLb1EEEEDaSK_SL_EUlSK_E_NS1_11comp_targetILNS1_3genE2ELNS1_11target_archE906ELNS1_3gpuE6ELNS1_3repE0EEENS1_30default_config_static_selectorELNS0_4arch9wavefront6targetE0EEEvT1_.numbered_sgpr, 0
	.set _ZN7rocprim17ROCPRIM_400000_NS6detail17trampoline_kernelINS0_14default_configENS1_20scan_config_selectorIjEEZZNS1_9scan_implILNS1_25lookback_scan_determinismE0ELb1ELb1ES3_PjS8_jN6hipcub16HIPCUB_304000_NS3SumEjEEDaPvRmT3_T4_T5_mT6_P12ihipStream_tbENKUlT_T0_E_clISt17integral_constantIbLb0EESO_IbLb1EEEEDaSK_SL_EUlSK_E_NS1_11comp_targetILNS1_3genE2ELNS1_11target_archE906ELNS1_3gpuE6ELNS1_3repE0EEENS1_30default_config_static_selectorELNS0_4arch9wavefront6targetE0EEEvT1_.num_named_barrier, 0
	.set _ZN7rocprim17ROCPRIM_400000_NS6detail17trampoline_kernelINS0_14default_configENS1_20scan_config_selectorIjEEZZNS1_9scan_implILNS1_25lookback_scan_determinismE0ELb1ELb1ES3_PjS8_jN6hipcub16HIPCUB_304000_NS3SumEjEEDaPvRmT3_T4_T5_mT6_P12ihipStream_tbENKUlT_T0_E_clISt17integral_constantIbLb0EESO_IbLb1EEEEDaSK_SL_EUlSK_E_NS1_11comp_targetILNS1_3genE2ELNS1_11target_archE906ELNS1_3gpuE6ELNS1_3repE0EEENS1_30default_config_static_selectorELNS0_4arch9wavefront6targetE0EEEvT1_.private_seg_size, 0
	.set _ZN7rocprim17ROCPRIM_400000_NS6detail17trampoline_kernelINS0_14default_configENS1_20scan_config_selectorIjEEZZNS1_9scan_implILNS1_25lookback_scan_determinismE0ELb1ELb1ES3_PjS8_jN6hipcub16HIPCUB_304000_NS3SumEjEEDaPvRmT3_T4_T5_mT6_P12ihipStream_tbENKUlT_T0_E_clISt17integral_constantIbLb0EESO_IbLb1EEEEDaSK_SL_EUlSK_E_NS1_11comp_targetILNS1_3genE2ELNS1_11target_archE906ELNS1_3gpuE6ELNS1_3repE0EEENS1_30default_config_static_selectorELNS0_4arch9wavefront6targetE0EEEvT1_.uses_vcc, 0
	.set _ZN7rocprim17ROCPRIM_400000_NS6detail17trampoline_kernelINS0_14default_configENS1_20scan_config_selectorIjEEZZNS1_9scan_implILNS1_25lookback_scan_determinismE0ELb1ELb1ES3_PjS8_jN6hipcub16HIPCUB_304000_NS3SumEjEEDaPvRmT3_T4_T5_mT6_P12ihipStream_tbENKUlT_T0_E_clISt17integral_constantIbLb0EESO_IbLb1EEEEDaSK_SL_EUlSK_E_NS1_11comp_targetILNS1_3genE2ELNS1_11target_archE906ELNS1_3gpuE6ELNS1_3repE0EEENS1_30default_config_static_selectorELNS0_4arch9wavefront6targetE0EEEvT1_.uses_flat_scratch, 0
	.set _ZN7rocprim17ROCPRIM_400000_NS6detail17trampoline_kernelINS0_14default_configENS1_20scan_config_selectorIjEEZZNS1_9scan_implILNS1_25lookback_scan_determinismE0ELb1ELb1ES3_PjS8_jN6hipcub16HIPCUB_304000_NS3SumEjEEDaPvRmT3_T4_T5_mT6_P12ihipStream_tbENKUlT_T0_E_clISt17integral_constantIbLb0EESO_IbLb1EEEEDaSK_SL_EUlSK_E_NS1_11comp_targetILNS1_3genE2ELNS1_11target_archE906ELNS1_3gpuE6ELNS1_3repE0EEENS1_30default_config_static_selectorELNS0_4arch9wavefront6targetE0EEEvT1_.has_dyn_sized_stack, 0
	.set _ZN7rocprim17ROCPRIM_400000_NS6detail17trampoline_kernelINS0_14default_configENS1_20scan_config_selectorIjEEZZNS1_9scan_implILNS1_25lookback_scan_determinismE0ELb1ELb1ES3_PjS8_jN6hipcub16HIPCUB_304000_NS3SumEjEEDaPvRmT3_T4_T5_mT6_P12ihipStream_tbENKUlT_T0_E_clISt17integral_constantIbLb0EESO_IbLb1EEEEDaSK_SL_EUlSK_E_NS1_11comp_targetILNS1_3genE2ELNS1_11target_archE906ELNS1_3gpuE6ELNS1_3repE0EEENS1_30default_config_static_selectorELNS0_4arch9wavefront6targetE0EEEvT1_.has_recursion, 0
	.set _ZN7rocprim17ROCPRIM_400000_NS6detail17trampoline_kernelINS0_14default_configENS1_20scan_config_selectorIjEEZZNS1_9scan_implILNS1_25lookback_scan_determinismE0ELb1ELb1ES3_PjS8_jN6hipcub16HIPCUB_304000_NS3SumEjEEDaPvRmT3_T4_T5_mT6_P12ihipStream_tbENKUlT_T0_E_clISt17integral_constantIbLb0EESO_IbLb1EEEEDaSK_SL_EUlSK_E_NS1_11comp_targetILNS1_3genE2ELNS1_11target_archE906ELNS1_3gpuE6ELNS1_3repE0EEENS1_30default_config_static_selectorELNS0_4arch9wavefront6targetE0EEEvT1_.has_indirect_call, 0
	.section	.AMDGPU.csdata,"",@progbits
; Kernel info:
; codeLenInByte = 0
; TotalNumSgprs: 0
; NumVgprs: 0
; ScratchSize: 0
; MemoryBound: 0
; FloatMode: 240
; IeeeMode: 1
; LDSByteSize: 0 bytes/workgroup (compile time only)
; SGPRBlocks: 0
; VGPRBlocks: 0
; NumSGPRsForWavesPerEU: 1
; NumVGPRsForWavesPerEU: 1
; NamedBarCnt: 0
; Occupancy: 16
; WaveLimiterHint : 0
; COMPUTE_PGM_RSRC2:SCRATCH_EN: 0
; COMPUTE_PGM_RSRC2:USER_SGPR: 2
; COMPUTE_PGM_RSRC2:TRAP_HANDLER: 0
; COMPUTE_PGM_RSRC2:TGID_X_EN: 1
; COMPUTE_PGM_RSRC2:TGID_Y_EN: 0
; COMPUTE_PGM_RSRC2:TGID_Z_EN: 0
; COMPUTE_PGM_RSRC2:TIDIG_COMP_CNT: 0
	.section	.text._ZN7rocprim17ROCPRIM_400000_NS6detail17trampoline_kernelINS0_14default_configENS1_20scan_config_selectorIjEEZZNS1_9scan_implILNS1_25lookback_scan_determinismE0ELb1ELb1ES3_PjS8_jN6hipcub16HIPCUB_304000_NS3SumEjEEDaPvRmT3_T4_T5_mT6_P12ihipStream_tbENKUlT_T0_E_clISt17integral_constantIbLb0EESO_IbLb1EEEEDaSK_SL_EUlSK_E_NS1_11comp_targetILNS1_3genE10ELNS1_11target_archE1201ELNS1_3gpuE5ELNS1_3repE0EEENS1_30default_config_static_selectorELNS0_4arch9wavefront6targetE0EEEvT1_,"axG",@progbits,_ZN7rocprim17ROCPRIM_400000_NS6detail17trampoline_kernelINS0_14default_configENS1_20scan_config_selectorIjEEZZNS1_9scan_implILNS1_25lookback_scan_determinismE0ELb1ELb1ES3_PjS8_jN6hipcub16HIPCUB_304000_NS3SumEjEEDaPvRmT3_T4_T5_mT6_P12ihipStream_tbENKUlT_T0_E_clISt17integral_constantIbLb0EESO_IbLb1EEEEDaSK_SL_EUlSK_E_NS1_11comp_targetILNS1_3genE10ELNS1_11target_archE1201ELNS1_3gpuE5ELNS1_3repE0EEENS1_30default_config_static_selectorELNS0_4arch9wavefront6targetE0EEEvT1_,comdat
	.protected	_ZN7rocprim17ROCPRIM_400000_NS6detail17trampoline_kernelINS0_14default_configENS1_20scan_config_selectorIjEEZZNS1_9scan_implILNS1_25lookback_scan_determinismE0ELb1ELb1ES3_PjS8_jN6hipcub16HIPCUB_304000_NS3SumEjEEDaPvRmT3_T4_T5_mT6_P12ihipStream_tbENKUlT_T0_E_clISt17integral_constantIbLb0EESO_IbLb1EEEEDaSK_SL_EUlSK_E_NS1_11comp_targetILNS1_3genE10ELNS1_11target_archE1201ELNS1_3gpuE5ELNS1_3repE0EEENS1_30default_config_static_selectorELNS0_4arch9wavefront6targetE0EEEvT1_ ; -- Begin function _ZN7rocprim17ROCPRIM_400000_NS6detail17trampoline_kernelINS0_14default_configENS1_20scan_config_selectorIjEEZZNS1_9scan_implILNS1_25lookback_scan_determinismE0ELb1ELb1ES3_PjS8_jN6hipcub16HIPCUB_304000_NS3SumEjEEDaPvRmT3_T4_T5_mT6_P12ihipStream_tbENKUlT_T0_E_clISt17integral_constantIbLb0EESO_IbLb1EEEEDaSK_SL_EUlSK_E_NS1_11comp_targetILNS1_3genE10ELNS1_11target_archE1201ELNS1_3gpuE5ELNS1_3repE0EEENS1_30default_config_static_selectorELNS0_4arch9wavefront6targetE0EEEvT1_
	.globl	_ZN7rocprim17ROCPRIM_400000_NS6detail17trampoline_kernelINS0_14default_configENS1_20scan_config_selectorIjEEZZNS1_9scan_implILNS1_25lookback_scan_determinismE0ELb1ELb1ES3_PjS8_jN6hipcub16HIPCUB_304000_NS3SumEjEEDaPvRmT3_T4_T5_mT6_P12ihipStream_tbENKUlT_T0_E_clISt17integral_constantIbLb0EESO_IbLb1EEEEDaSK_SL_EUlSK_E_NS1_11comp_targetILNS1_3genE10ELNS1_11target_archE1201ELNS1_3gpuE5ELNS1_3repE0EEENS1_30default_config_static_selectorELNS0_4arch9wavefront6targetE0EEEvT1_
	.p2align	8
	.type	_ZN7rocprim17ROCPRIM_400000_NS6detail17trampoline_kernelINS0_14default_configENS1_20scan_config_selectorIjEEZZNS1_9scan_implILNS1_25lookback_scan_determinismE0ELb1ELb1ES3_PjS8_jN6hipcub16HIPCUB_304000_NS3SumEjEEDaPvRmT3_T4_T5_mT6_P12ihipStream_tbENKUlT_T0_E_clISt17integral_constantIbLb0EESO_IbLb1EEEEDaSK_SL_EUlSK_E_NS1_11comp_targetILNS1_3genE10ELNS1_11target_archE1201ELNS1_3gpuE5ELNS1_3repE0EEENS1_30default_config_static_selectorELNS0_4arch9wavefront6targetE0EEEvT1_,@function
_ZN7rocprim17ROCPRIM_400000_NS6detail17trampoline_kernelINS0_14default_configENS1_20scan_config_selectorIjEEZZNS1_9scan_implILNS1_25lookback_scan_determinismE0ELb1ELb1ES3_PjS8_jN6hipcub16HIPCUB_304000_NS3SumEjEEDaPvRmT3_T4_T5_mT6_P12ihipStream_tbENKUlT_T0_E_clISt17integral_constantIbLb0EESO_IbLb1EEEEDaSK_SL_EUlSK_E_NS1_11comp_targetILNS1_3genE10ELNS1_11target_archE1201ELNS1_3gpuE5ELNS1_3repE0EEENS1_30default_config_static_selectorELNS0_4arch9wavefront6targetE0EEEvT1_: ; @_ZN7rocprim17ROCPRIM_400000_NS6detail17trampoline_kernelINS0_14default_configENS1_20scan_config_selectorIjEEZZNS1_9scan_implILNS1_25lookback_scan_determinismE0ELb1ELb1ES3_PjS8_jN6hipcub16HIPCUB_304000_NS3SumEjEEDaPvRmT3_T4_T5_mT6_P12ihipStream_tbENKUlT_T0_E_clISt17integral_constantIbLb0EESO_IbLb1EEEEDaSK_SL_EUlSK_E_NS1_11comp_targetILNS1_3genE10ELNS1_11target_archE1201ELNS1_3gpuE5ELNS1_3repE0EEENS1_30default_config_static_selectorELNS0_4arch9wavefront6targetE0EEEvT1_
; %bb.0:
	.section	.rodata,"a",@progbits
	.p2align	6, 0x0
	.amdhsa_kernel _ZN7rocprim17ROCPRIM_400000_NS6detail17trampoline_kernelINS0_14default_configENS1_20scan_config_selectorIjEEZZNS1_9scan_implILNS1_25lookback_scan_determinismE0ELb1ELb1ES3_PjS8_jN6hipcub16HIPCUB_304000_NS3SumEjEEDaPvRmT3_T4_T5_mT6_P12ihipStream_tbENKUlT_T0_E_clISt17integral_constantIbLb0EESO_IbLb1EEEEDaSK_SL_EUlSK_E_NS1_11comp_targetILNS1_3genE10ELNS1_11target_archE1201ELNS1_3gpuE5ELNS1_3repE0EEENS1_30default_config_static_selectorELNS0_4arch9wavefront6targetE0EEEvT1_
		.amdhsa_group_segment_fixed_size 0
		.amdhsa_private_segment_fixed_size 0
		.amdhsa_kernarg_size 96
		.amdhsa_user_sgpr_count 2
		.amdhsa_user_sgpr_dispatch_ptr 0
		.amdhsa_user_sgpr_queue_ptr 0
		.amdhsa_user_sgpr_kernarg_segment_ptr 1
		.amdhsa_user_sgpr_dispatch_id 0
		.amdhsa_user_sgpr_kernarg_preload_length 0
		.amdhsa_user_sgpr_kernarg_preload_offset 0
		.amdhsa_user_sgpr_private_segment_size 0
		.amdhsa_wavefront_size32 1
		.amdhsa_uses_dynamic_stack 0
		.amdhsa_enable_private_segment 0
		.amdhsa_system_sgpr_workgroup_id_x 1
		.amdhsa_system_sgpr_workgroup_id_y 0
		.amdhsa_system_sgpr_workgroup_id_z 0
		.amdhsa_system_sgpr_workgroup_info 0
		.amdhsa_system_vgpr_workitem_id 0
		.amdhsa_next_free_vgpr 1
		.amdhsa_next_free_sgpr 1
		.amdhsa_named_barrier_count 0
		.amdhsa_reserve_vcc 0
		.amdhsa_float_round_mode_32 0
		.amdhsa_float_round_mode_16_64 0
		.amdhsa_float_denorm_mode_32 3
		.amdhsa_float_denorm_mode_16_64 3
		.amdhsa_fp16_overflow 0
		.amdhsa_memory_ordered 1
		.amdhsa_forward_progress 1
		.amdhsa_inst_pref_size 0
		.amdhsa_round_robin_scheduling 0
		.amdhsa_exception_fp_ieee_invalid_op 0
		.amdhsa_exception_fp_denorm_src 0
		.amdhsa_exception_fp_ieee_div_zero 0
		.amdhsa_exception_fp_ieee_overflow 0
		.amdhsa_exception_fp_ieee_underflow 0
		.amdhsa_exception_fp_ieee_inexact 0
		.amdhsa_exception_int_div_zero 0
	.end_amdhsa_kernel
	.section	.text._ZN7rocprim17ROCPRIM_400000_NS6detail17trampoline_kernelINS0_14default_configENS1_20scan_config_selectorIjEEZZNS1_9scan_implILNS1_25lookback_scan_determinismE0ELb1ELb1ES3_PjS8_jN6hipcub16HIPCUB_304000_NS3SumEjEEDaPvRmT3_T4_T5_mT6_P12ihipStream_tbENKUlT_T0_E_clISt17integral_constantIbLb0EESO_IbLb1EEEEDaSK_SL_EUlSK_E_NS1_11comp_targetILNS1_3genE10ELNS1_11target_archE1201ELNS1_3gpuE5ELNS1_3repE0EEENS1_30default_config_static_selectorELNS0_4arch9wavefront6targetE0EEEvT1_,"axG",@progbits,_ZN7rocprim17ROCPRIM_400000_NS6detail17trampoline_kernelINS0_14default_configENS1_20scan_config_selectorIjEEZZNS1_9scan_implILNS1_25lookback_scan_determinismE0ELb1ELb1ES3_PjS8_jN6hipcub16HIPCUB_304000_NS3SumEjEEDaPvRmT3_T4_T5_mT6_P12ihipStream_tbENKUlT_T0_E_clISt17integral_constantIbLb0EESO_IbLb1EEEEDaSK_SL_EUlSK_E_NS1_11comp_targetILNS1_3genE10ELNS1_11target_archE1201ELNS1_3gpuE5ELNS1_3repE0EEENS1_30default_config_static_selectorELNS0_4arch9wavefront6targetE0EEEvT1_,comdat
.Lfunc_end72:
	.size	_ZN7rocprim17ROCPRIM_400000_NS6detail17trampoline_kernelINS0_14default_configENS1_20scan_config_selectorIjEEZZNS1_9scan_implILNS1_25lookback_scan_determinismE0ELb1ELb1ES3_PjS8_jN6hipcub16HIPCUB_304000_NS3SumEjEEDaPvRmT3_T4_T5_mT6_P12ihipStream_tbENKUlT_T0_E_clISt17integral_constantIbLb0EESO_IbLb1EEEEDaSK_SL_EUlSK_E_NS1_11comp_targetILNS1_3genE10ELNS1_11target_archE1201ELNS1_3gpuE5ELNS1_3repE0EEENS1_30default_config_static_selectorELNS0_4arch9wavefront6targetE0EEEvT1_, .Lfunc_end72-_ZN7rocprim17ROCPRIM_400000_NS6detail17trampoline_kernelINS0_14default_configENS1_20scan_config_selectorIjEEZZNS1_9scan_implILNS1_25lookback_scan_determinismE0ELb1ELb1ES3_PjS8_jN6hipcub16HIPCUB_304000_NS3SumEjEEDaPvRmT3_T4_T5_mT6_P12ihipStream_tbENKUlT_T0_E_clISt17integral_constantIbLb0EESO_IbLb1EEEEDaSK_SL_EUlSK_E_NS1_11comp_targetILNS1_3genE10ELNS1_11target_archE1201ELNS1_3gpuE5ELNS1_3repE0EEENS1_30default_config_static_selectorELNS0_4arch9wavefront6targetE0EEEvT1_
                                        ; -- End function
	.set _ZN7rocprim17ROCPRIM_400000_NS6detail17trampoline_kernelINS0_14default_configENS1_20scan_config_selectorIjEEZZNS1_9scan_implILNS1_25lookback_scan_determinismE0ELb1ELb1ES3_PjS8_jN6hipcub16HIPCUB_304000_NS3SumEjEEDaPvRmT3_T4_T5_mT6_P12ihipStream_tbENKUlT_T0_E_clISt17integral_constantIbLb0EESO_IbLb1EEEEDaSK_SL_EUlSK_E_NS1_11comp_targetILNS1_3genE10ELNS1_11target_archE1201ELNS1_3gpuE5ELNS1_3repE0EEENS1_30default_config_static_selectorELNS0_4arch9wavefront6targetE0EEEvT1_.num_vgpr, 0
	.set _ZN7rocprim17ROCPRIM_400000_NS6detail17trampoline_kernelINS0_14default_configENS1_20scan_config_selectorIjEEZZNS1_9scan_implILNS1_25lookback_scan_determinismE0ELb1ELb1ES3_PjS8_jN6hipcub16HIPCUB_304000_NS3SumEjEEDaPvRmT3_T4_T5_mT6_P12ihipStream_tbENKUlT_T0_E_clISt17integral_constantIbLb0EESO_IbLb1EEEEDaSK_SL_EUlSK_E_NS1_11comp_targetILNS1_3genE10ELNS1_11target_archE1201ELNS1_3gpuE5ELNS1_3repE0EEENS1_30default_config_static_selectorELNS0_4arch9wavefront6targetE0EEEvT1_.num_agpr, 0
	.set _ZN7rocprim17ROCPRIM_400000_NS6detail17trampoline_kernelINS0_14default_configENS1_20scan_config_selectorIjEEZZNS1_9scan_implILNS1_25lookback_scan_determinismE0ELb1ELb1ES3_PjS8_jN6hipcub16HIPCUB_304000_NS3SumEjEEDaPvRmT3_T4_T5_mT6_P12ihipStream_tbENKUlT_T0_E_clISt17integral_constantIbLb0EESO_IbLb1EEEEDaSK_SL_EUlSK_E_NS1_11comp_targetILNS1_3genE10ELNS1_11target_archE1201ELNS1_3gpuE5ELNS1_3repE0EEENS1_30default_config_static_selectorELNS0_4arch9wavefront6targetE0EEEvT1_.numbered_sgpr, 0
	.set _ZN7rocprim17ROCPRIM_400000_NS6detail17trampoline_kernelINS0_14default_configENS1_20scan_config_selectorIjEEZZNS1_9scan_implILNS1_25lookback_scan_determinismE0ELb1ELb1ES3_PjS8_jN6hipcub16HIPCUB_304000_NS3SumEjEEDaPvRmT3_T4_T5_mT6_P12ihipStream_tbENKUlT_T0_E_clISt17integral_constantIbLb0EESO_IbLb1EEEEDaSK_SL_EUlSK_E_NS1_11comp_targetILNS1_3genE10ELNS1_11target_archE1201ELNS1_3gpuE5ELNS1_3repE0EEENS1_30default_config_static_selectorELNS0_4arch9wavefront6targetE0EEEvT1_.num_named_barrier, 0
	.set _ZN7rocprim17ROCPRIM_400000_NS6detail17trampoline_kernelINS0_14default_configENS1_20scan_config_selectorIjEEZZNS1_9scan_implILNS1_25lookback_scan_determinismE0ELb1ELb1ES3_PjS8_jN6hipcub16HIPCUB_304000_NS3SumEjEEDaPvRmT3_T4_T5_mT6_P12ihipStream_tbENKUlT_T0_E_clISt17integral_constantIbLb0EESO_IbLb1EEEEDaSK_SL_EUlSK_E_NS1_11comp_targetILNS1_3genE10ELNS1_11target_archE1201ELNS1_3gpuE5ELNS1_3repE0EEENS1_30default_config_static_selectorELNS0_4arch9wavefront6targetE0EEEvT1_.private_seg_size, 0
	.set _ZN7rocprim17ROCPRIM_400000_NS6detail17trampoline_kernelINS0_14default_configENS1_20scan_config_selectorIjEEZZNS1_9scan_implILNS1_25lookback_scan_determinismE0ELb1ELb1ES3_PjS8_jN6hipcub16HIPCUB_304000_NS3SumEjEEDaPvRmT3_T4_T5_mT6_P12ihipStream_tbENKUlT_T0_E_clISt17integral_constantIbLb0EESO_IbLb1EEEEDaSK_SL_EUlSK_E_NS1_11comp_targetILNS1_3genE10ELNS1_11target_archE1201ELNS1_3gpuE5ELNS1_3repE0EEENS1_30default_config_static_selectorELNS0_4arch9wavefront6targetE0EEEvT1_.uses_vcc, 0
	.set _ZN7rocprim17ROCPRIM_400000_NS6detail17trampoline_kernelINS0_14default_configENS1_20scan_config_selectorIjEEZZNS1_9scan_implILNS1_25lookback_scan_determinismE0ELb1ELb1ES3_PjS8_jN6hipcub16HIPCUB_304000_NS3SumEjEEDaPvRmT3_T4_T5_mT6_P12ihipStream_tbENKUlT_T0_E_clISt17integral_constantIbLb0EESO_IbLb1EEEEDaSK_SL_EUlSK_E_NS1_11comp_targetILNS1_3genE10ELNS1_11target_archE1201ELNS1_3gpuE5ELNS1_3repE0EEENS1_30default_config_static_selectorELNS0_4arch9wavefront6targetE0EEEvT1_.uses_flat_scratch, 0
	.set _ZN7rocprim17ROCPRIM_400000_NS6detail17trampoline_kernelINS0_14default_configENS1_20scan_config_selectorIjEEZZNS1_9scan_implILNS1_25lookback_scan_determinismE0ELb1ELb1ES3_PjS8_jN6hipcub16HIPCUB_304000_NS3SumEjEEDaPvRmT3_T4_T5_mT6_P12ihipStream_tbENKUlT_T0_E_clISt17integral_constantIbLb0EESO_IbLb1EEEEDaSK_SL_EUlSK_E_NS1_11comp_targetILNS1_3genE10ELNS1_11target_archE1201ELNS1_3gpuE5ELNS1_3repE0EEENS1_30default_config_static_selectorELNS0_4arch9wavefront6targetE0EEEvT1_.has_dyn_sized_stack, 0
	.set _ZN7rocprim17ROCPRIM_400000_NS6detail17trampoline_kernelINS0_14default_configENS1_20scan_config_selectorIjEEZZNS1_9scan_implILNS1_25lookback_scan_determinismE0ELb1ELb1ES3_PjS8_jN6hipcub16HIPCUB_304000_NS3SumEjEEDaPvRmT3_T4_T5_mT6_P12ihipStream_tbENKUlT_T0_E_clISt17integral_constantIbLb0EESO_IbLb1EEEEDaSK_SL_EUlSK_E_NS1_11comp_targetILNS1_3genE10ELNS1_11target_archE1201ELNS1_3gpuE5ELNS1_3repE0EEENS1_30default_config_static_selectorELNS0_4arch9wavefront6targetE0EEEvT1_.has_recursion, 0
	.set _ZN7rocprim17ROCPRIM_400000_NS6detail17trampoline_kernelINS0_14default_configENS1_20scan_config_selectorIjEEZZNS1_9scan_implILNS1_25lookback_scan_determinismE0ELb1ELb1ES3_PjS8_jN6hipcub16HIPCUB_304000_NS3SumEjEEDaPvRmT3_T4_T5_mT6_P12ihipStream_tbENKUlT_T0_E_clISt17integral_constantIbLb0EESO_IbLb1EEEEDaSK_SL_EUlSK_E_NS1_11comp_targetILNS1_3genE10ELNS1_11target_archE1201ELNS1_3gpuE5ELNS1_3repE0EEENS1_30default_config_static_selectorELNS0_4arch9wavefront6targetE0EEEvT1_.has_indirect_call, 0
	.section	.AMDGPU.csdata,"",@progbits
; Kernel info:
; codeLenInByte = 0
; TotalNumSgprs: 0
; NumVgprs: 0
; ScratchSize: 0
; MemoryBound: 0
; FloatMode: 240
; IeeeMode: 1
; LDSByteSize: 0 bytes/workgroup (compile time only)
; SGPRBlocks: 0
; VGPRBlocks: 0
; NumSGPRsForWavesPerEU: 1
; NumVGPRsForWavesPerEU: 1
; NamedBarCnt: 0
; Occupancy: 16
; WaveLimiterHint : 0
; COMPUTE_PGM_RSRC2:SCRATCH_EN: 0
; COMPUTE_PGM_RSRC2:USER_SGPR: 2
; COMPUTE_PGM_RSRC2:TRAP_HANDLER: 0
; COMPUTE_PGM_RSRC2:TGID_X_EN: 1
; COMPUTE_PGM_RSRC2:TGID_Y_EN: 0
; COMPUTE_PGM_RSRC2:TGID_Z_EN: 0
; COMPUTE_PGM_RSRC2:TIDIG_COMP_CNT: 0
	.section	.text._ZN7rocprim17ROCPRIM_400000_NS6detail17trampoline_kernelINS0_14default_configENS1_20scan_config_selectorIjEEZZNS1_9scan_implILNS1_25lookback_scan_determinismE0ELb1ELb1ES3_PjS8_jN6hipcub16HIPCUB_304000_NS3SumEjEEDaPvRmT3_T4_T5_mT6_P12ihipStream_tbENKUlT_T0_E_clISt17integral_constantIbLb0EESO_IbLb1EEEEDaSK_SL_EUlSK_E_NS1_11comp_targetILNS1_3genE10ELNS1_11target_archE1200ELNS1_3gpuE4ELNS1_3repE0EEENS1_30default_config_static_selectorELNS0_4arch9wavefront6targetE0EEEvT1_,"axG",@progbits,_ZN7rocprim17ROCPRIM_400000_NS6detail17trampoline_kernelINS0_14default_configENS1_20scan_config_selectorIjEEZZNS1_9scan_implILNS1_25lookback_scan_determinismE0ELb1ELb1ES3_PjS8_jN6hipcub16HIPCUB_304000_NS3SumEjEEDaPvRmT3_T4_T5_mT6_P12ihipStream_tbENKUlT_T0_E_clISt17integral_constantIbLb0EESO_IbLb1EEEEDaSK_SL_EUlSK_E_NS1_11comp_targetILNS1_3genE10ELNS1_11target_archE1200ELNS1_3gpuE4ELNS1_3repE0EEENS1_30default_config_static_selectorELNS0_4arch9wavefront6targetE0EEEvT1_,comdat
	.protected	_ZN7rocprim17ROCPRIM_400000_NS6detail17trampoline_kernelINS0_14default_configENS1_20scan_config_selectorIjEEZZNS1_9scan_implILNS1_25lookback_scan_determinismE0ELb1ELb1ES3_PjS8_jN6hipcub16HIPCUB_304000_NS3SumEjEEDaPvRmT3_T4_T5_mT6_P12ihipStream_tbENKUlT_T0_E_clISt17integral_constantIbLb0EESO_IbLb1EEEEDaSK_SL_EUlSK_E_NS1_11comp_targetILNS1_3genE10ELNS1_11target_archE1200ELNS1_3gpuE4ELNS1_3repE0EEENS1_30default_config_static_selectorELNS0_4arch9wavefront6targetE0EEEvT1_ ; -- Begin function _ZN7rocprim17ROCPRIM_400000_NS6detail17trampoline_kernelINS0_14default_configENS1_20scan_config_selectorIjEEZZNS1_9scan_implILNS1_25lookback_scan_determinismE0ELb1ELb1ES3_PjS8_jN6hipcub16HIPCUB_304000_NS3SumEjEEDaPvRmT3_T4_T5_mT6_P12ihipStream_tbENKUlT_T0_E_clISt17integral_constantIbLb0EESO_IbLb1EEEEDaSK_SL_EUlSK_E_NS1_11comp_targetILNS1_3genE10ELNS1_11target_archE1200ELNS1_3gpuE4ELNS1_3repE0EEENS1_30default_config_static_selectorELNS0_4arch9wavefront6targetE0EEEvT1_
	.globl	_ZN7rocprim17ROCPRIM_400000_NS6detail17trampoline_kernelINS0_14default_configENS1_20scan_config_selectorIjEEZZNS1_9scan_implILNS1_25lookback_scan_determinismE0ELb1ELb1ES3_PjS8_jN6hipcub16HIPCUB_304000_NS3SumEjEEDaPvRmT3_T4_T5_mT6_P12ihipStream_tbENKUlT_T0_E_clISt17integral_constantIbLb0EESO_IbLb1EEEEDaSK_SL_EUlSK_E_NS1_11comp_targetILNS1_3genE10ELNS1_11target_archE1200ELNS1_3gpuE4ELNS1_3repE0EEENS1_30default_config_static_selectorELNS0_4arch9wavefront6targetE0EEEvT1_
	.p2align	8
	.type	_ZN7rocprim17ROCPRIM_400000_NS6detail17trampoline_kernelINS0_14default_configENS1_20scan_config_selectorIjEEZZNS1_9scan_implILNS1_25lookback_scan_determinismE0ELb1ELb1ES3_PjS8_jN6hipcub16HIPCUB_304000_NS3SumEjEEDaPvRmT3_T4_T5_mT6_P12ihipStream_tbENKUlT_T0_E_clISt17integral_constantIbLb0EESO_IbLb1EEEEDaSK_SL_EUlSK_E_NS1_11comp_targetILNS1_3genE10ELNS1_11target_archE1200ELNS1_3gpuE4ELNS1_3repE0EEENS1_30default_config_static_selectorELNS0_4arch9wavefront6targetE0EEEvT1_,@function
_ZN7rocprim17ROCPRIM_400000_NS6detail17trampoline_kernelINS0_14default_configENS1_20scan_config_selectorIjEEZZNS1_9scan_implILNS1_25lookback_scan_determinismE0ELb1ELb1ES3_PjS8_jN6hipcub16HIPCUB_304000_NS3SumEjEEDaPvRmT3_T4_T5_mT6_P12ihipStream_tbENKUlT_T0_E_clISt17integral_constantIbLb0EESO_IbLb1EEEEDaSK_SL_EUlSK_E_NS1_11comp_targetILNS1_3genE10ELNS1_11target_archE1200ELNS1_3gpuE4ELNS1_3repE0EEENS1_30default_config_static_selectorELNS0_4arch9wavefront6targetE0EEEvT1_: ; @_ZN7rocprim17ROCPRIM_400000_NS6detail17trampoline_kernelINS0_14default_configENS1_20scan_config_selectorIjEEZZNS1_9scan_implILNS1_25lookback_scan_determinismE0ELb1ELb1ES3_PjS8_jN6hipcub16HIPCUB_304000_NS3SumEjEEDaPvRmT3_T4_T5_mT6_P12ihipStream_tbENKUlT_T0_E_clISt17integral_constantIbLb0EESO_IbLb1EEEEDaSK_SL_EUlSK_E_NS1_11comp_targetILNS1_3genE10ELNS1_11target_archE1200ELNS1_3gpuE4ELNS1_3repE0EEENS1_30default_config_static_selectorELNS0_4arch9wavefront6targetE0EEEvT1_
; %bb.0:
	.section	.rodata,"a",@progbits
	.p2align	6, 0x0
	.amdhsa_kernel _ZN7rocprim17ROCPRIM_400000_NS6detail17trampoline_kernelINS0_14default_configENS1_20scan_config_selectorIjEEZZNS1_9scan_implILNS1_25lookback_scan_determinismE0ELb1ELb1ES3_PjS8_jN6hipcub16HIPCUB_304000_NS3SumEjEEDaPvRmT3_T4_T5_mT6_P12ihipStream_tbENKUlT_T0_E_clISt17integral_constantIbLb0EESO_IbLb1EEEEDaSK_SL_EUlSK_E_NS1_11comp_targetILNS1_3genE10ELNS1_11target_archE1200ELNS1_3gpuE4ELNS1_3repE0EEENS1_30default_config_static_selectorELNS0_4arch9wavefront6targetE0EEEvT1_
		.amdhsa_group_segment_fixed_size 0
		.amdhsa_private_segment_fixed_size 0
		.amdhsa_kernarg_size 96
		.amdhsa_user_sgpr_count 2
		.amdhsa_user_sgpr_dispatch_ptr 0
		.amdhsa_user_sgpr_queue_ptr 0
		.amdhsa_user_sgpr_kernarg_segment_ptr 1
		.amdhsa_user_sgpr_dispatch_id 0
		.amdhsa_user_sgpr_kernarg_preload_length 0
		.amdhsa_user_sgpr_kernarg_preload_offset 0
		.amdhsa_user_sgpr_private_segment_size 0
		.amdhsa_wavefront_size32 1
		.amdhsa_uses_dynamic_stack 0
		.amdhsa_enable_private_segment 0
		.amdhsa_system_sgpr_workgroup_id_x 1
		.amdhsa_system_sgpr_workgroup_id_y 0
		.amdhsa_system_sgpr_workgroup_id_z 0
		.amdhsa_system_sgpr_workgroup_info 0
		.amdhsa_system_vgpr_workitem_id 0
		.amdhsa_next_free_vgpr 1
		.amdhsa_next_free_sgpr 1
		.amdhsa_named_barrier_count 0
		.amdhsa_reserve_vcc 0
		.amdhsa_float_round_mode_32 0
		.amdhsa_float_round_mode_16_64 0
		.amdhsa_float_denorm_mode_32 3
		.amdhsa_float_denorm_mode_16_64 3
		.amdhsa_fp16_overflow 0
		.amdhsa_memory_ordered 1
		.amdhsa_forward_progress 1
		.amdhsa_inst_pref_size 0
		.amdhsa_round_robin_scheduling 0
		.amdhsa_exception_fp_ieee_invalid_op 0
		.amdhsa_exception_fp_denorm_src 0
		.amdhsa_exception_fp_ieee_div_zero 0
		.amdhsa_exception_fp_ieee_overflow 0
		.amdhsa_exception_fp_ieee_underflow 0
		.amdhsa_exception_fp_ieee_inexact 0
		.amdhsa_exception_int_div_zero 0
	.end_amdhsa_kernel
	.section	.text._ZN7rocprim17ROCPRIM_400000_NS6detail17trampoline_kernelINS0_14default_configENS1_20scan_config_selectorIjEEZZNS1_9scan_implILNS1_25lookback_scan_determinismE0ELb1ELb1ES3_PjS8_jN6hipcub16HIPCUB_304000_NS3SumEjEEDaPvRmT3_T4_T5_mT6_P12ihipStream_tbENKUlT_T0_E_clISt17integral_constantIbLb0EESO_IbLb1EEEEDaSK_SL_EUlSK_E_NS1_11comp_targetILNS1_3genE10ELNS1_11target_archE1200ELNS1_3gpuE4ELNS1_3repE0EEENS1_30default_config_static_selectorELNS0_4arch9wavefront6targetE0EEEvT1_,"axG",@progbits,_ZN7rocprim17ROCPRIM_400000_NS6detail17trampoline_kernelINS0_14default_configENS1_20scan_config_selectorIjEEZZNS1_9scan_implILNS1_25lookback_scan_determinismE0ELb1ELb1ES3_PjS8_jN6hipcub16HIPCUB_304000_NS3SumEjEEDaPvRmT3_T4_T5_mT6_P12ihipStream_tbENKUlT_T0_E_clISt17integral_constantIbLb0EESO_IbLb1EEEEDaSK_SL_EUlSK_E_NS1_11comp_targetILNS1_3genE10ELNS1_11target_archE1200ELNS1_3gpuE4ELNS1_3repE0EEENS1_30default_config_static_selectorELNS0_4arch9wavefront6targetE0EEEvT1_,comdat
.Lfunc_end73:
	.size	_ZN7rocprim17ROCPRIM_400000_NS6detail17trampoline_kernelINS0_14default_configENS1_20scan_config_selectorIjEEZZNS1_9scan_implILNS1_25lookback_scan_determinismE0ELb1ELb1ES3_PjS8_jN6hipcub16HIPCUB_304000_NS3SumEjEEDaPvRmT3_T4_T5_mT6_P12ihipStream_tbENKUlT_T0_E_clISt17integral_constantIbLb0EESO_IbLb1EEEEDaSK_SL_EUlSK_E_NS1_11comp_targetILNS1_3genE10ELNS1_11target_archE1200ELNS1_3gpuE4ELNS1_3repE0EEENS1_30default_config_static_selectorELNS0_4arch9wavefront6targetE0EEEvT1_, .Lfunc_end73-_ZN7rocprim17ROCPRIM_400000_NS6detail17trampoline_kernelINS0_14default_configENS1_20scan_config_selectorIjEEZZNS1_9scan_implILNS1_25lookback_scan_determinismE0ELb1ELb1ES3_PjS8_jN6hipcub16HIPCUB_304000_NS3SumEjEEDaPvRmT3_T4_T5_mT6_P12ihipStream_tbENKUlT_T0_E_clISt17integral_constantIbLb0EESO_IbLb1EEEEDaSK_SL_EUlSK_E_NS1_11comp_targetILNS1_3genE10ELNS1_11target_archE1200ELNS1_3gpuE4ELNS1_3repE0EEENS1_30default_config_static_selectorELNS0_4arch9wavefront6targetE0EEEvT1_
                                        ; -- End function
	.set _ZN7rocprim17ROCPRIM_400000_NS6detail17trampoline_kernelINS0_14default_configENS1_20scan_config_selectorIjEEZZNS1_9scan_implILNS1_25lookback_scan_determinismE0ELb1ELb1ES3_PjS8_jN6hipcub16HIPCUB_304000_NS3SumEjEEDaPvRmT3_T4_T5_mT6_P12ihipStream_tbENKUlT_T0_E_clISt17integral_constantIbLb0EESO_IbLb1EEEEDaSK_SL_EUlSK_E_NS1_11comp_targetILNS1_3genE10ELNS1_11target_archE1200ELNS1_3gpuE4ELNS1_3repE0EEENS1_30default_config_static_selectorELNS0_4arch9wavefront6targetE0EEEvT1_.num_vgpr, 0
	.set _ZN7rocprim17ROCPRIM_400000_NS6detail17trampoline_kernelINS0_14default_configENS1_20scan_config_selectorIjEEZZNS1_9scan_implILNS1_25lookback_scan_determinismE0ELb1ELb1ES3_PjS8_jN6hipcub16HIPCUB_304000_NS3SumEjEEDaPvRmT3_T4_T5_mT6_P12ihipStream_tbENKUlT_T0_E_clISt17integral_constantIbLb0EESO_IbLb1EEEEDaSK_SL_EUlSK_E_NS1_11comp_targetILNS1_3genE10ELNS1_11target_archE1200ELNS1_3gpuE4ELNS1_3repE0EEENS1_30default_config_static_selectorELNS0_4arch9wavefront6targetE0EEEvT1_.num_agpr, 0
	.set _ZN7rocprim17ROCPRIM_400000_NS6detail17trampoline_kernelINS0_14default_configENS1_20scan_config_selectorIjEEZZNS1_9scan_implILNS1_25lookback_scan_determinismE0ELb1ELb1ES3_PjS8_jN6hipcub16HIPCUB_304000_NS3SumEjEEDaPvRmT3_T4_T5_mT6_P12ihipStream_tbENKUlT_T0_E_clISt17integral_constantIbLb0EESO_IbLb1EEEEDaSK_SL_EUlSK_E_NS1_11comp_targetILNS1_3genE10ELNS1_11target_archE1200ELNS1_3gpuE4ELNS1_3repE0EEENS1_30default_config_static_selectorELNS0_4arch9wavefront6targetE0EEEvT1_.numbered_sgpr, 0
	.set _ZN7rocprim17ROCPRIM_400000_NS6detail17trampoline_kernelINS0_14default_configENS1_20scan_config_selectorIjEEZZNS1_9scan_implILNS1_25lookback_scan_determinismE0ELb1ELb1ES3_PjS8_jN6hipcub16HIPCUB_304000_NS3SumEjEEDaPvRmT3_T4_T5_mT6_P12ihipStream_tbENKUlT_T0_E_clISt17integral_constantIbLb0EESO_IbLb1EEEEDaSK_SL_EUlSK_E_NS1_11comp_targetILNS1_3genE10ELNS1_11target_archE1200ELNS1_3gpuE4ELNS1_3repE0EEENS1_30default_config_static_selectorELNS0_4arch9wavefront6targetE0EEEvT1_.num_named_barrier, 0
	.set _ZN7rocprim17ROCPRIM_400000_NS6detail17trampoline_kernelINS0_14default_configENS1_20scan_config_selectorIjEEZZNS1_9scan_implILNS1_25lookback_scan_determinismE0ELb1ELb1ES3_PjS8_jN6hipcub16HIPCUB_304000_NS3SumEjEEDaPvRmT3_T4_T5_mT6_P12ihipStream_tbENKUlT_T0_E_clISt17integral_constantIbLb0EESO_IbLb1EEEEDaSK_SL_EUlSK_E_NS1_11comp_targetILNS1_3genE10ELNS1_11target_archE1200ELNS1_3gpuE4ELNS1_3repE0EEENS1_30default_config_static_selectorELNS0_4arch9wavefront6targetE0EEEvT1_.private_seg_size, 0
	.set _ZN7rocprim17ROCPRIM_400000_NS6detail17trampoline_kernelINS0_14default_configENS1_20scan_config_selectorIjEEZZNS1_9scan_implILNS1_25lookback_scan_determinismE0ELb1ELb1ES3_PjS8_jN6hipcub16HIPCUB_304000_NS3SumEjEEDaPvRmT3_T4_T5_mT6_P12ihipStream_tbENKUlT_T0_E_clISt17integral_constantIbLb0EESO_IbLb1EEEEDaSK_SL_EUlSK_E_NS1_11comp_targetILNS1_3genE10ELNS1_11target_archE1200ELNS1_3gpuE4ELNS1_3repE0EEENS1_30default_config_static_selectorELNS0_4arch9wavefront6targetE0EEEvT1_.uses_vcc, 0
	.set _ZN7rocprim17ROCPRIM_400000_NS6detail17trampoline_kernelINS0_14default_configENS1_20scan_config_selectorIjEEZZNS1_9scan_implILNS1_25lookback_scan_determinismE0ELb1ELb1ES3_PjS8_jN6hipcub16HIPCUB_304000_NS3SumEjEEDaPvRmT3_T4_T5_mT6_P12ihipStream_tbENKUlT_T0_E_clISt17integral_constantIbLb0EESO_IbLb1EEEEDaSK_SL_EUlSK_E_NS1_11comp_targetILNS1_3genE10ELNS1_11target_archE1200ELNS1_3gpuE4ELNS1_3repE0EEENS1_30default_config_static_selectorELNS0_4arch9wavefront6targetE0EEEvT1_.uses_flat_scratch, 0
	.set _ZN7rocprim17ROCPRIM_400000_NS6detail17trampoline_kernelINS0_14default_configENS1_20scan_config_selectorIjEEZZNS1_9scan_implILNS1_25lookback_scan_determinismE0ELb1ELb1ES3_PjS8_jN6hipcub16HIPCUB_304000_NS3SumEjEEDaPvRmT3_T4_T5_mT6_P12ihipStream_tbENKUlT_T0_E_clISt17integral_constantIbLb0EESO_IbLb1EEEEDaSK_SL_EUlSK_E_NS1_11comp_targetILNS1_3genE10ELNS1_11target_archE1200ELNS1_3gpuE4ELNS1_3repE0EEENS1_30default_config_static_selectorELNS0_4arch9wavefront6targetE0EEEvT1_.has_dyn_sized_stack, 0
	.set _ZN7rocprim17ROCPRIM_400000_NS6detail17trampoline_kernelINS0_14default_configENS1_20scan_config_selectorIjEEZZNS1_9scan_implILNS1_25lookback_scan_determinismE0ELb1ELb1ES3_PjS8_jN6hipcub16HIPCUB_304000_NS3SumEjEEDaPvRmT3_T4_T5_mT6_P12ihipStream_tbENKUlT_T0_E_clISt17integral_constantIbLb0EESO_IbLb1EEEEDaSK_SL_EUlSK_E_NS1_11comp_targetILNS1_3genE10ELNS1_11target_archE1200ELNS1_3gpuE4ELNS1_3repE0EEENS1_30default_config_static_selectorELNS0_4arch9wavefront6targetE0EEEvT1_.has_recursion, 0
	.set _ZN7rocprim17ROCPRIM_400000_NS6detail17trampoline_kernelINS0_14default_configENS1_20scan_config_selectorIjEEZZNS1_9scan_implILNS1_25lookback_scan_determinismE0ELb1ELb1ES3_PjS8_jN6hipcub16HIPCUB_304000_NS3SumEjEEDaPvRmT3_T4_T5_mT6_P12ihipStream_tbENKUlT_T0_E_clISt17integral_constantIbLb0EESO_IbLb1EEEEDaSK_SL_EUlSK_E_NS1_11comp_targetILNS1_3genE10ELNS1_11target_archE1200ELNS1_3gpuE4ELNS1_3repE0EEENS1_30default_config_static_selectorELNS0_4arch9wavefront6targetE0EEEvT1_.has_indirect_call, 0
	.section	.AMDGPU.csdata,"",@progbits
; Kernel info:
; codeLenInByte = 0
; TotalNumSgprs: 0
; NumVgprs: 0
; ScratchSize: 0
; MemoryBound: 0
; FloatMode: 240
; IeeeMode: 1
; LDSByteSize: 0 bytes/workgroup (compile time only)
; SGPRBlocks: 0
; VGPRBlocks: 0
; NumSGPRsForWavesPerEU: 1
; NumVGPRsForWavesPerEU: 1
; NamedBarCnt: 0
; Occupancy: 16
; WaveLimiterHint : 0
; COMPUTE_PGM_RSRC2:SCRATCH_EN: 0
; COMPUTE_PGM_RSRC2:USER_SGPR: 2
; COMPUTE_PGM_RSRC2:TRAP_HANDLER: 0
; COMPUTE_PGM_RSRC2:TGID_X_EN: 1
; COMPUTE_PGM_RSRC2:TGID_Y_EN: 0
; COMPUTE_PGM_RSRC2:TGID_Z_EN: 0
; COMPUTE_PGM_RSRC2:TIDIG_COMP_CNT: 0
	.section	.text._ZN7rocprim17ROCPRIM_400000_NS6detail17trampoline_kernelINS0_14default_configENS1_20scan_config_selectorIjEEZZNS1_9scan_implILNS1_25lookback_scan_determinismE0ELb1ELb1ES3_PjS8_jN6hipcub16HIPCUB_304000_NS3SumEjEEDaPvRmT3_T4_T5_mT6_P12ihipStream_tbENKUlT_T0_E_clISt17integral_constantIbLb0EESO_IbLb1EEEEDaSK_SL_EUlSK_E_NS1_11comp_targetILNS1_3genE9ELNS1_11target_archE1100ELNS1_3gpuE3ELNS1_3repE0EEENS1_30default_config_static_selectorELNS0_4arch9wavefront6targetE0EEEvT1_,"axG",@progbits,_ZN7rocprim17ROCPRIM_400000_NS6detail17trampoline_kernelINS0_14default_configENS1_20scan_config_selectorIjEEZZNS1_9scan_implILNS1_25lookback_scan_determinismE0ELb1ELb1ES3_PjS8_jN6hipcub16HIPCUB_304000_NS3SumEjEEDaPvRmT3_T4_T5_mT6_P12ihipStream_tbENKUlT_T0_E_clISt17integral_constantIbLb0EESO_IbLb1EEEEDaSK_SL_EUlSK_E_NS1_11comp_targetILNS1_3genE9ELNS1_11target_archE1100ELNS1_3gpuE3ELNS1_3repE0EEENS1_30default_config_static_selectorELNS0_4arch9wavefront6targetE0EEEvT1_,comdat
	.protected	_ZN7rocprim17ROCPRIM_400000_NS6detail17trampoline_kernelINS0_14default_configENS1_20scan_config_selectorIjEEZZNS1_9scan_implILNS1_25lookback_scan_determinismE0ELb1ELb1ES3_PjS8_jN6hipcub16HIPCUB_304000_NS3SumEjEEDaPvRmT3_T4_T5_mT6_P12ihipStream_tbENKUlT_T0_E_clISt17integral_constantIbLb0EESO_IbLb1EEEEDaSK_SL_EUlSK_E_NS1_11comp_targetILNS1_3genE9ELNS1_11target_archE1100ELNS1_3gpuE3ELNS1_3repE0EEENS1_30default_config_static_selectorELNS0_4arch9wavefront6targetE0EEEvT1_ ; -- Begin function _ZN7rocprim17ROCPRIM_400000_NS6detail17trampoline_kernelINS0_14default_configENS1_20scan_config_selectorIjEEZZNS1_9scan_implILNS1_25lookback_scan_determinismE0ELb1ELb1ES3_PjS8_jN6hipcub16HIPCUB_304000_NS3SumEjEEDaPvRmT3_T4_T5_mT6_P12ihipStream_tbENKUlT_T0_E_clISt17integral_constantIbLb0EESO_IbLb1EEEEDaSK_SL_EUlSK_E_NS1_11comp_targetILNS1_3genE9ELNS1_11target_archE1100ELNS1_3gpuE3ELNS1_3repE0EEENS1_30default_config_static_selectorELNS0_4arch9wavefront6targetE0EEEvT1_
	.globl	_ZN7rocprim17ROCPRIM_400000_NS6detail17trampoline_kernelINS0_14default_configENS1_20scan_config_selectorIjEEZZNS1_9scan_implILNS1_25lookback_scan_determinismE0ELb1ELb1ES3_PjS8_jN6hipcub16HIPCUB_304000_NS3SumEjEEDaPvRmT3_T4_T5_mT6_P12ihipStream_tbENKUlT_T0_E_clISt17integral_constantIbLb0EESO_IbLb1EEEEDaSK_SL_EUlSK_E_NS1_11comp_targetILNS1_3genE9ELNS1_11target_archE1100ELNS1_3gpuE3ELNS1_3repE0EEENS1_30default_config_static_selectorELNS0_4arch9wavefront6targetE0EEEvT1_
	.p2align	8
	.type	_ZN7rocprim17ROCPRIM_400000_NS6detail17trampoline_kernelINS0_14default_configENS1_20scan_config_selectorIjEEZZNS1_9scan_implILNS1_25lookback_scan_determinismE0ELb1ELb1ES3_PjS8_jN6hipcub16HIPCUB_304000_NS3SumEjEEDaPvRmT3_T4_T5_mT6_P12ihipStream_tbENKUlT_T0_E_clISt17integral_constantIbLb0EESO_IbLb1EEEEDaSK_SL_EUlSK_E_NS1_11comp_targetILNS1_3genE9ELNS1_11target_archE1100ELNS1_3gpuE3ELNS1_3repE0EEENS1_30default_config_static_selectorELNS0_4arch9wavefront6targetE0EEEvT1_,@function
_ZN7rocprim17ROCPRIM_400000_NS6detail17trampoline_kernelINS0_14default_configENS1_20scan_config_selectorIjEEZZNS1_9scan_implILNS1_25lookback_scan_determinismE0ELb1ELb1ES3_PjS8_jN6hipcub16HIPCUB_304000_NS3SumEjEEDaPvRmT3_T4_T5_mT6_P12ihipStream_tbENKUlT_T0_E_clISt17integral_constantIbLb0EESO_IbLb1EEEEDaSK_SL_EUlSK_E_NS1_11comp_targetILNS1_3genE9ELNS1_11target_archE1100ELNS1_3gpuE3ELNS1_3repE0EEENS1_30default_config_static_selectorELNS0_4arch9wavefront6targetE0EEEvT1_: ; @_ZN7rocprim17ROCPRIM_400000_NS6detail17trampoline_kernelINS0_14default_configENS1_20scan_config_selectorIjEEZZNS1_9scan_implILNS1_25lookback_scan_determinismE0ELb1ELb1ES3_PjS8_jN6hipcub16HIPCUB_304000_NS3SumEjEEDaPvRmT3_T4_T5_mT6_P12ihipStream_tbENKUlT_T0_E_clISt17integral_constantIbLb0EESO_IbLb1EEEEDaSK_SL_EUlSK_E_NS1_11comp_targetILNS1_3genE9ELNS1_11target_archE1100ELNS1_3gpuE3ELNS1_3repE0EEENS1_30default_config_static_selectorELNS0_4arch9wavefront6targetE0EEEvT1_
; %bb.0:
	.section	.rodata,"a",@progbits
	.p2align	6, 0x0
	.amdhsa_kernel _ZN7rocprim17ROCPRIM_400000_NS6detail17trampoline_kernelINS0_14default_configENS1_20scan_config_selectorIjEEZZNS1_9scan_implILNS1_25lookback_scan_determinismE0ELb1ELb1ES3_PjS8_jN6hipcub16HIPCUB_304000_NS3SumEjEEDaPvRmT3_T4_T5_mT6_P12ihipStream_tbENKUlT_T0_E_clISt17integral_constantIbLb0EESO_IbLb1EEEEDaSK_SL_EUlSK_E_NS1_11comp_targetILNS1_3genE9ELNS1_11target_archE1100ELNS1_3gpuE3ELNS1_3repE0EEENS1_30default_config_static_selectorELNS0_4arch9wavefront6targetE0EEEvT1_
		.amdhsa_group_segment_fixed_size 0
		.amdhsa_private_segment_fixed_size 0
		.amdhsa_kernarg_size 96
		.amdhsa_user_sgpr_count 2
		.amdhsa_user_sgpr_dispatch_ptr 0
		.amdhsa_user_sgpr_queue_ptr 0
		.amdhsa_user_sgpr_kernarg_segment_ptr 1
		.amdhsa_user_sgpr_dispatch_id 0
		.amdhsa_user_sgpr_kernarg_preload_length 0
		.amdhsa_user_sgpr_kernarg_preload_offset 0
		.amdhsa_user_sgpr_private_segment_size 0
		.amdhsa_wavefront_size32 1
		.amdhsa_uses_dynamic_stack 0
		.amdhsa_enable_private_segment 0
		.amdhsa_system_sgpr_workgroup_id_x 1
		.amdhsa_system_sgpr_workgroup_id_y 0
		.amdhsa_system_sgpr_workgroup_id_z 0
		.amdhsa_system_sgpr_workgroup_info 0
		.amdhsa_system_vgpr_workitem_id 0
		.amdhsa_next_free_vgpr 1
		.amdhsa_next_free_sgpr 1
		.amdhsa_named_barrier_count 0
		.amdhsa_reserve_vcc 0
		.amdhsa_float_round_mode_32 0
		.amdhsa_float_round_mode_16_64 0
		.amdhsa_float_denorm_mode_32 3
		.amdhsa_float_denorm_mode_16_64 3
		.amdhsa_fp16_overflow 0
		.amdhsa_memory_ordered 1
		.amdhsa_forward_progress 1
		.amdhsa_inst_pref_size 0
		.amdhsa_round_robin_scheduling 0
		.amdhsa_exception_fp_ieee_invalid_op 0
		.amdhsa_exception_fp_denorm_src 0
		.amdhsa_exception_fp_ieee_div_zero 0
		.amdhsa_exception_fp_ieee_overflow 0
		.amdhsa_exception_fp_ieee_underflow 0
		.amdhsa_exception_fp_ieee_inexact 0
		.amdhsa_exception_int_div_zero 0
	.end_amdhsa_kernel
	.section	.text._ZN7rocprim17ROCPRIM_400000_NS6detail17trampoline_kernelINS0_14default_configENS1_20scan_config_selectorIjEEZZNS1_9scan_implILNS1_25lookback_scan_determinismE0ELb1ELb1ES3_PjS8_jN6hipcub16HIPCUB_304000_NS3SumEjEEDaPvRmT3_T4_T5_mT6_P12ihipStream_tbENKUlT_T0_E_clISt17integral_constantIbLb0EESO_IbLb1EEEEDaSK_SL_EUlSK_E_NS1_11comp_targetILNS1_3genE9ELNS1_11target_archE1100ELNS1_3gpuE3ELNS1_3repE0EEENS1_30default_config_static_selectorELNS0_4arch9wavefront6targetE0EEEvT1_,"axG",@progbits,_ZN7rocprim17ROCPRIM_400000_NS6detail17trampoline_kernelINS0_14default_configENS1_20scan_config_selectorIjEEZZNS1_9scan_implILNS1_25lookback_scan_determinismE0ELb1ELb1ES3_PjS8_jN6hipcub16HIPCUB_304000_NS3SumEjEEDaPvRmT3_T4_T5_mT6_P12ihipStream_tbENKUlT_T0_E_clISt17integral_constantIbLb0EESO_IbLb1EEEEDaSK_SL_EUlSK_E_NS1_11comp_targetILNS1_3genE9ELNS1_11target_archE1100ELNS1_3gpuE3ELNS1_3repE0EEENS1_30default_config_static_selectorELNS0_4arch9wavefront6targetE0EEEvT1_,comdat
.Lfunc_end74:
	.size	_ZN7rocprim17ROCPRIM_400000_NS6detail17trampoline_kernelINS0_14default_configENS1_20scan_config_selectorIjEEZZNS1_9scan_implILNS1_25lookback_scan_determinismE0ELb1ELb1ES3_PjS8_jN6hipcub16HIPCUB_304000_NS3SumEjEEDaPvRmT3_T4_T5_mT6_P12ihipStream_tbENKUlT_T0_E_clISt17integral_constantIbLb0EESO_IbLb1EEEEDaSK_SL_EUlSK_E_NS1_11comp_targetILNS1_3genE9ELNS1_11target_archE1100ELNS1_3gpuE3ELNS1_3repE0EEENS1_30default_config_static_selectorELNS0_4arch9wavefront6targetE0EEEvT1_, .Lfunc_end74-_ZN7rocprim17ROCPRIM_400000_NS6detail17trampoline_kernelINS0_14default_configENS1_20scan_config_selectorIjEEZZNS1_9scan_implILNS1_25lookback_scan_determinismE0ELb1ELb1ES3_PjS8_jN6hipcub16HIPCUB_304000_NS3SumEjEEDaPvRmT3_T4_T5_mT6_P12ihipStream_tbENKUlT_T0_E_clISt17integral_constantIbLb0EESO_IbLb1EEEEDaSK_SL_EUlSK_E_NS1_11comp_targetILNS1_3genE9ELNS1_11target_archE1100ELNS1_3gpuE3ELNS1_3repE0EEENS1_30default_config_static_selectorELNS0_4arch9wavefront6targetE0EEEvT1_
                                        ; -- End function
	.set _ZN7rocprim17ROCPRIM_400000_NS6detail17trampoline_kernelINS0_14default_configENS1_20scan_config_selectorIjEEZZNS1_9scan_implILNS1_25lookback_scan_determinismE0ELb1ELb1ES3_PjS8_jN6hipcub16HIPCUB_304000_NS3SumEjEEDaPvRmT3_T4_T5_mT6_P12ihipStream_tbENKUlT_T0_E_clISt17integral_constantIbLb0EESO_IbLb1EEEEDaSK_SL_EUlSK_E_NS1_11comp_targetILNS1_3genE9ELNS1_11target_archE1100ELNS1_3gpuE3ELNS1_3repE0EEENS1_30default_config_static_selectorELNS0_4arch9wavefront6targetE0EEEvT1_.num_vgpr, 0
	.set _ZN7rocprim17ROCPRIM_400000_NS6detail17trampoline_kernelINS0_14default_configENS1_20scan_config_selectorIjEEZZNS1_9scan_implILNS1_25lookback_scan_determinismE0ELb1ELb1ES3_PjS8_jN6hipcub16HIPCUB_304000_NS3SumEjEEDaPvRmT3_T4_T5_mT6_P12ihipStream_tbENKUlT_T0_E_clISt17integral_constantIbLb0EESO_IbLb1EEEEDaSK_SL_EUlSK_E_NS1_11comp_targetILNS1_3genE9ELNS1_11target_archE1100ELNS1_3gpuE3ELNS1_3repE0EEENS1_30default_config_static_selectorELNS0_4arch9wavefront6targetE0EEEvT1_.num_agpr, 0
	.set _ZN7rocprim17ROCPRIM_400000_NS6detail17trampoline_kernelINS0_14default_configENS1_20scan_config_selectorIjEEZZNS1_9scan_implILNS1_25lookback_scan_determinismE0ELb1ELb1ES3_PjS8_jN6hipcub16HIPCUB_304000_NS3SumEjEEDaPvRmT3_T4_T5_mT6_P12ihipStream_tbENKUlT_T0_E_clISt17integral_constantIbLb0EESO_IbLb1EEEEDaSK_SL_EUlSK_E_NS1_11comp_targetILNS1_3genE9ELNS1_11target_archE1100ELNS1_3gpuE3ELNS1_3repE0EEENS1_30default_config_static_selectorELNS0_4arch9wavefront6targetE0EEEvT1_.numbered_sgpr, 0
	.set _ZN7rocprim17ROCPRIM_400000_NS6detail17trampoline_kernelINS0_14default_configENS1_20scan_config_selectorIjEEZZNS1_9scan_implILNS1_25lookback_scan_determinismE0ELb1ELb1ES3_PjS8_jN6hipcub16HIPCUB_304000_NS3SumEjEEDaPvRmT3_T4_T5_mT6_P12ihipStream_tbENKUlT_T0_E_clISt17integral_constantIbLb0EESO_IbLb1EEEEDaSK_SL_EUlSK_E_NS1_11comp_targetILNS1_3genE9ELNS1_11target_archE1100ELNS1_3gpuE3ELNS1_3repE0EEENS1_30default_config_static_selectorELNS0_4arch9wavefront6targetE0EEEvT1_.num_named_barrier, 0
	.set _ZN7rocprim17ROCPRIM_400000_NS6detail17trampoline_kernelINS0_14default_configENS1_20scan_config_selectorIjEEZZNS1_9scan_implILNS1_25lookback_scan_determinismE0ELb1ELb1ES3_PjS8_jN6hipcub16HIPCUB_304000_NS3SumEjEEDaPvRmT3_T4_T5_mT6_P12ihipStream_tbENKUlT_T0_E_clISt17integral_constantIbLb0EESO_IbLb1EEEEDaSK_SL_EUlSK_E_NS1_11comp_targetILNS1_3genE9ELNS1_11target_archE1100ELNS1_3gpuE3ELNS1_3repE0EEENS1_30default_config_static_selectorELNS0_4arch9wavefront6targetE0EEEvT1_.private_seg_size, 0
	.set _ZN7rocprim17ROCPRIM_400000_NS6detail17trampoline_kernelINS0_14default_configENS1_20scan_config_selectorIjEEZZNS1_9scan_implILNS1_25lookback_scan_determinismE0ELb1ELb1ES3_PjS8_jN6hipcub16HIPCUB_304000_NS3SumEjEEDaPvRmT3_T4_T5_mT6_P12ihipStream_tbENKUlT_T0_E_clISt17integral_constantIbLb0EESO_IbLb1EEEEDaSK_SL_EUlSK_E_NS1_11comp_targetILNS1_3genE9ELNS1_11target_archE1100ELNS1_3gpuE3ELNS1_3repE0EEENS1_30default_config_static_selectorELNS0_4arch9wavefront6targetE0EEEvT1_.uses_vcc, 0
	.set _ZN7rocprim17ROCPRIM_400000_NS6detail17trampoline_kernelINS0_14default_configENS1_20scan_config_selectorIjEEZZNS1_9scan_implILNS1_25lookback_scan_determinismE0ELb1ELb1ES3_PjS8_jN6hipcub16HIPCUB_304000_NS3SumEjEEDaPvRmT3_T4_T5_mT6_P12ihipStream_tbENKUlT_T0_E_clISt17integral_constantIbLb0EESO_IbLb1EEEEDaSK_SL_EUlSK_E_NS1_11comp_targetILNS1_3genE9ELNS1_11target_archE1100ELNS1_3gpuE3ELNS1_3repE0EEENS1_30default_config_static_selectorELNS0_4arch9wavefront6targetE0EEEvT1_.uses_flat_scratch, 0
	.set _ZN7rocprim17ROCPRIM_400000_NS6detail17trampoline_kernelINS0_14default_configENS1_20scan_config_selectorIjEEZZNS1_9scan_implILNS1_25lookback_scan_determinismE0ELb1ELb1ES3_PjS8_jN6hipcub16HIPCUB_304000_NS3SumEjEEDaPvRmT3_T4_T5_mT6_P12ihipStream_tbENKUlT_T0_E_clISt17integral_constantIbLb0EESO_IbLb1EEEEDaSK_SL_EUlSK_E_NS1_11comp_targetILNS1_3genE9ELNS1_11target_archE1100ELNS1_3gpuE3ELNS1_3repE0EEENS1_30default_config_static_selectorELNS0_4arch9wavefront6targetE0EEEvT1_.has_dyn_sized_stack, 0
	.set _ZN7rocprim17ROCPRIM_400000_NS6detail17trampoline_kernelINS0_14default_configENS1_20scan_config_selectorIjEEZZNS1_9scan_implILNS1_25lookback_scan_determinismE0ELb1ELb1ES3_PjS8_jN6hipcub16HIPCUB_304000_NS3SumEjEEDaPvRmT3_T4_T5_mT6_P12ihipStream_tbENKUlT_T0_E_clISt17integral_constantIbLb0EESO_IbLb1EEEEDaSK_SL_EUlSK_E_NS1_11comp_targetILNS1_3genE9ELNS1_11target_archE1100ELNS1_3gpuE3ELNS1_3repE0EEENS1_30default_config_static_selectorELNS0_4arch9wavefront6targetE0EEEvT1_.has_recursion, 0
	.set _ZN7rocprim17ROCPRIM_400000_NS6detail17trampoline_kernelINS0_14default_configENS1_20scan_config_selectorIjEEZZNS1_9scan_implILNS1_25lookback_scan_determinismE0ELb1ELb1ES3_PjS8_jN6hipcub16HIPCUB_304000_NS3SumEjEEDaPvRmT3_T4_T5_mT6_P12ihipStream_tbENKUlT_T0_E_clISt17integral_constantIbLb0EESO_IbLb1EEEEDaSK_SL_EUlSK_E_NS1_11comp_targetILNS1_3genE9ELNS1_11target_archE1100ELNS1_3gpuE3ELNS1_3repE0EEENS1_30default_config_static_selectorELNS0_4arch9wavefront6targetE0EEEvT1_.has_indirect_call, 0
	.section	.AMDGPU.csdata,"",@progbits
; Kernel info:
; codeLenInByte = 0
; TotalNumSgprs: 0
; NumVgprs: 0
; ScratchSize: 0
; MemoryBound: 0
; FloatMode: 240
; IeeeMode: 1
; LDSByteSize: 0 bytes/workgroup (compile time only)
; SGPRBlocks: 0
; VGPRBlocks: 0
; NumSGPRsForWavesPerEU: 1
; NumVGPRsForWavesPerEU: 1
; NamedBarCnt: 0
; Occupancy: 16
; WaveLimiterHint : 0
; COMPUTE_PGM_RSRC2:SCRATCH_EN: 0
; COMPUTE_PGM_RSRC2:USER_SGPR: 2
; COMPUTE_PGM_RSRC2:TRAP_HANDLER: 0
; COMPUTE_PGM_RSRC2:TGID_X_EN: 1
; COMPUTE_PGM_RSRC2:TGID_Y_EN: 0
; COMPUTE_PGM_RSRC2:TGID_Z_EN: 0
; COMPUTE_PGM_RSRC2:TIDIG_COMP_CNT: 0
	.section	.text._ZN7rocprim17ROCPRIM_400000_NS6detail17trampoline_kernelINS0_14default_configENS1_20scan_config_selectorIjEEZZNS1_9scan_implILNS1_25lookback_scan_determinismE0ELb1ELb1ES3_PjS8_jN6hipcub16HIPCUB_304000_NS3SumEjEEDaPvRmT3_T4_T5_mT6_P12ihipStream_tbENKUlT_T0_E_clISt17integral_constantIbLb0EESO_IbLb1EEEEDaSK_SL_EUlSK_E_NS1_11comp_targetILNS1_3genE8ELNS1_11target_archE1030ELNS1_3gpuE2ELNS1_3repE0EEENS1_30default_config_static_selectorELNS0_4arch9wavefront6targetE0EEEvT1_,"axG",@progbits,_ZN7rocprim17ROCPRIM_400000_NS6detail17trampoline_kernelINS0_14default_configENS1_20scan_config_selectorIjEEZZNS1_9scan_implILNS1_25lookback_scan_determinismE0ELb1ELb1ES3_PjS8_jN6hipcub16HIPCUB_304000_NS3SumEjEEDaPvRmT3_T4_T5_mT6_P12ihipStream_tbENKUlT_T0_E_clISt17integral_constantIbLb0EESO_IbLb1EEEEDaSK_SL_EUlSK_E_NS1_11comp_targetILNS1_3genE8ELNS1_11target_archE1030ELNS1_3gpuE2ELNS1_3repE0EEENS1_30default_config_static_selectorELNS0_4arch9wavefront6targetE0EEEvT1_,comdat
	.protected	_ZN7rocprim17ROCPRIM_400000_NS6detail17trampoline_kernelINS0_14default_configENS1_20scan_config_selectorIjEEZZNS1_9scan_implILNS1_25lookback_scan_determinismE0ELb1ELb1ES3_PjS8_jN6hipcub16HIPCUB_304000_NS3SumEjEEDaPvRmT3_T4_T5_mT6_P12ihipStream_tbENKUlT_T0_E_clISt17integral_constantIbLb0EESO_IbLb1EEEEDaSK_SL_EUlSK_E_NS1_11comp_targetILNS1_3genE8ELNS1_11target_archE1030ELNS1_3gpuE2ELNS1_3repE0EEENS1_30default_config_static_selectorELNS0_4arch9wavefront6targetE0EEEvT1_ ; -- Begin function _ZN7rocprim17ROCPRIM_400000_NS6detail17trampoline_kernelINS0_14default_configENS1_20scan_config_selectorIjEEZZNS1_9scan_implILNS1_25lookback_scan_determinismE0ELb1ELb1ES3_PjS8_jN6hipcub16HIPCUB_304000_NS3SumEjEEDaPvRmT3_T4_T5_mT6_P12ihipStream_tbENKUlT_T0_E_clISt17integral_constantIbLb0EESO_IbLb1EEEEDaSK_SL_EUlSK_E_NS1_11comp_targetILNS1_3genE8ELNS1_11target_archE1030ELNS1_3gpuE2ELNS1_3repE0EEENS1_30default_config_static_selectorELNS0_4arch9wavefront6targetE0EEEvT1_
	.globl	_ZN7rocprim17ROCPRIM_400000_NS6detail17trampoline_kernelINS0_14default_configENS1_20scan_config_selectorIjEEZZNS1_9scan_implILNS1_25lookback_scan_determinismE0ELb1ELb1ES3_PjS8_jN6hipcub16HIPCUB_304000_NS3SumEjEEDaPvRmT3_T4_T5_mT6_P12ihipStream_tbENKUlT_T0_E_clISt17integral_constantIbLb0EESO_IbLb1EEEEDaSK_SL_EUlSK_E_NS1_11comp_targetILNS1_3genE8ELNS1_11target_archE1030ELNS1_3gpuE2ELNS1_3repE0EEENS1_30default_config_static_selectorELNS0_4arch9wavefront6targetE0EEEvT1_
	.p2align	8
	.type	_ZN7rocprim17ROCPRIM_400000_NS6detail17trampoline_kernelINS0_14default_configENS1_20scan_config_selectorIjEEZZNS1_9scan_implILNS1_25lookback_scan_determinismE0ELb1ELb1ES3_PjS8_jN6hipcub16HIPCUB_304000_NS3SumEjEEDaPvRmT3_T4_T5_mT6_P12ihipStream_tbENKUlT_T0_E_clISt17integral_constantIbLb0EESO_IbLb1EEEEDaSK_SL_EUlSK_E_NS1_11comp_targetILNS1_3genE8ELNS1_11target_archE1030ELNS1_3gpuE2ELNS1_3repE0EEENS1_30default_config_static_selectorELNS0_4arch9wavefront6targetE0EEEvT1_,@function
_ZN7rocprim17ROCPRIM_400000_NS6detail17trampoline_kernelINS0_14default_configENS1_20scan_config_selectorIjEEZZNS1_9scan_implILNS1_25lookback_scan_determinismE0ELb1ELb1ES3_PjS8_jN6hipcub16HIPCUB_304000_NS3SumEjEEDaPvRmT3_T4_T5_mT6_P12ihipStream_tbENKUlT_T0_E_clISt17integral_constantIbLb0EESO_IbLb1EEEEDaSK_SL_EUlSK_E_NS1_11comp_targetILNS1_3genE8ELNS1_11target_archE1030ELNS1_3gpuE2ELNS1_3repE0EEENS1_30default_config_static_selectorELNS0_4arch9wavefront6targetE0EEEvT1_: ; @_ZN7rocprim17ROCPRIM_400000_NS6detail17trampoline_kernelINS0_14default_configENS1_20scan_config_selectorIjEEZZNS1_9scan_implILNS1_25lookback_scan_determinismE0ELb1ELb1ES3_PjS8_jN6hipcub16HIPCUB_304000_NS3SumEjEEDaPvRmT3_T4_T5_mT6_P12ihipStream_tbENKUlT_T0_E_clISt17integral_constantIbLb0EESO_IbLb1EEEEDaSK_SL_EUlSK_E_NS1_11comp_targetILNS1_3genE8ELNS1_11target_archE1030ELNS1_3gpuE2ELNS1_3repE0EEENS1_30default_config_static_selectorELNS0_4arch9wavefront6targetE0EEEvT1_
; %bb.0:
	.section	.rodata,"a",@progbits
	.p2align	6, 0x0
	.amdhsa_kernel _ZN7rocprim17ROCPRIM_400000_NS6detail17trampoline_kernelINS0_14default_configENS1_20scan_config_selectorIjEEZZNS1_9scan_implILNS1_25lookback_scan_determinismE0ELb1ELb1ES3_PjS8_jN6hipcub16HIPCUB_304000_NS3SumEjEEDaPvRmT3_T4_T5_mT6_P12ihipStream_tbENKUlT_T0_E_clISt17integral_constantIbLb0EESO_IbLb1EEEEDaSK_SL_EUlSK_E_NS1_11comp_targetILNS1_3genE8ELNS1_11target_archE1030ELNS1_3gpuE2ELNS1_3repE0EEENS1_30default_config_static_selectorELNS0_4arch9wavefront6targetE0EEEvT1_
		.amdhsa_group_segment_fixed_size 0
		.amdhsa_private_segment_fixed_size 0
		.amdhsa_kernarg_size 96
		.amdhsa_user_sgpr_count 2
		.amdhsa_user_sgpr_dispatch_ptr 0
		.amdhsa_user_sgpr_queue_ptr 0
		.amdhsa_user_sgpr_kernarg_segment_ptr 1
		.amdhsa_user_sgpr_dispatch_id 0
		.amdhsa_user_sgpr_kernarg_preload_length 0
		.amdhsa_user_sgpr_kernarg_preload_offset 0
		.amdhsa_user_sgpr_private_segment_size 0
		.amdhsa_wavefront_size32 1
		.amdhsa_uses_dynamic_stack 0
		.amdhsa_enable_private_segment 0
		.amdhsa_system_sgpr_workgroup_id_x 1
		.amdhsa_system_sgpr_workgroup_id_y 0
		.amdhsa_system_sgpr_workgroup_id_z 0
		.amdhsa_system_sgpr_workgroup_info 0
		.amdhsa_system_vgpr_workitem_id 0
		.amdhsa_next_free_vgpr 1
		.amdhsa_next_free_sgpr 1
		.amdhsa_named_barrier_count 0
		.amdhsa_reserve_vcc 0
		.amdhsa_float_round_mode_32 0
		.amdhsa_float_round_mode_16_64 0
		.amdhsa_float_denorm_mode_32 3
		.amdhsa_float_denorm_mode_16_64 3
		.amdhsa_fp16_overflow 0
		.amdhsa_memory_ordered 1
		.amdhsa_forward_progress 1
		.amdhsa_inst_pref_size 0
		.amdhsa_round_robin_scheduling 0
		.amdhsa_exception_fp_ieee_invalid_op 0
		.amdhsa_exception_fp_denorm_src 0
		.amdhsa_exception_fp_ieee_div_zero 0
		.amdhsa_exception_fp_ieee_overflow 0
		.amdhsa_exception_fp_ieee_underflow 0
		.amdhsa_exception_fp_ieee_inexact 0
		.amdhsa_exception_int_div_zero 0
	.end_amdhsa_kernel
	.section	.text._ZN7rocprim17ROCPRIM_400000_NS6detail17trampoline_kernelINS0_14default_configENS1_20scan_config_selectorIjEEZZNS1_9scan_implILNS1_25lookback_scan_determinismE0ELb1ELb1ES3_PjS8_jN6hipcub16HIPCUB_304000_NS3SumEjEEDaPvRmT3_T4_T5_mT6_P12ihipStream_tbENKUlT_T0_E_clISt17integral_constantIbLb0EESO_IbLb1EEEEDaSK_SL_EUlSK_E_NS1_11comp_targetILNS1_3genE8ELNS1_11target_archE1030ELNS1_3gpuE2ELNS1_3repE0EEENS1_30default_config_static_selectorELNS0_4arch9wavefront6targetE0EEEvT1_,"axG",@progbits,_ZN7rocprim17ROCPRIM_400000_NS6detail17trampoline_kernelINS0_14default_configENS1_20scan_config_selectorIjEEZZNS1_9scan_implILNS1_25lookback_scan_determinismE0ELb1ELb1ES3_PjS8_jN6hipcub16HIPCUB_304000_NS3SumEjEEDaPvRmT3_T4_T5_mT6_P12ihipStream_tbENKUlT_T0_E_clISt17integral_constantIbLb0EESO_IbLb1EEEEDaSK_SL_EUlSK_E_NS1_11comp_targetILNS1_3genE8ELNS1_11target_archE1030ELNS1_3gpuE2ELNS1_3repE0EEENS1_30default_config_static_selectorELNS0_4arch9wavefront6targetE0EEEvT1_,comdat
.Lfunc_end75:
	.size	_ZN7rocprim17ROCPRIM_400000_NS6detail17trampoline_kernelINS0_14default_configENS1_20scan_config_selectorIjEEZZNS1_9scan_implILNS1_25lookback_scan_determinismE0ELb1ELb1ES3_PjS8_jN6hipcub16HIPCUB_304000_NS3SumEjEEDaPvRmT3_T4_T5_mT6_P12ihipStream_tbENKUlT_T0_E_clISt17integral_constantIbLb0EESO_IbLb1EEEEDaSK_SL_EUlSK_E_NS1_11comp_targetILNS1_3genE8ELNS1_11target_archE1030ELNS1_3gpuE2ELNS1_3repE0EEENS1_30default_config_static_selectorELNS0_4arch9wavefront6targetE0EEEvT1_, .Lfunc_end75-_ZN7rocprim17ROCPRIM_400000_NS6detail17trampoline_kernelINS0_14default_configENS1_20scan_config_selectorIjEEZZNS1_9scan_implILNS1_25lookback_scan_determinismE0ELb1ELb1ES3_PjS8_jN6hipcub16HIPCUB_304000_NS3SumEjEEDaPvRmT3_T4_T5_mT6_P12ihipStream_tbENKUlT_T0_E_clISt17integral_constantIbLb0EESO_IbLb1EEEEDaSK_SL_EUlSK_E_NS1_11comp_targetILNS1_3genE8ELNS1_11target_archE1030ELNS1_3gpuE2ELNS1_3repE0EEENS1_30default_config_static_selectorELNS0_4arch9wavefront6targetE0EEEvT1_
                                        ; -- End function
	.set _ZN7rocprim17ROCPRIM_400000_NS6detail17trampoline_kernelINS0_14default_configENS1_20scan_config_selectorIjEEZZNS1_9scan_implILNS1_25lookback_scan_determinismE0ELb1ELb1ES3_PjS8_jN6hipcub16HIPCUB_304000_NS3SumEjEEDaPvRmT3_T4_T5_mT6_P12ihipStream_tbENKUlT_T0_E_clISt17integral_constantIbLb0EESO_IbLb1EEEEDaSK_SL_EUlSK_E_NS1_11comp_targetILNS1_3genE8ELNS1_11target_archE1030ELNS1_3gpuE2ELNS1_3repE0EEENS1_30default_config_static_selectorELNS0_4arch9wavefront6targetE0EEEvT1_.num_vgpr, 0
	.set _ZN7rocprim17ROCPRIM_400000_NS6detail17trampoline_kernelINS0_14default_configENS1_20scan_config_selectorIjEEZZNS1_9scan_implILNS1_25lookback_scan_determinismE0ELb1ELb1ES3_PjS8_jN6hipcub16HIPCUB_304000_NS3SumEjEEDaPvRmT3_T4_T5_mT6_P12ihipStream_tbENKUlT_T0_E_clISt17integral_constantIbLb0EESO_IbLb1EEEEDaSK_SL_EUlSK_E_NS1_11comp_targetILNS1_3genE8ELNS1_11target_archE1030ELNS1_3gpuE2ELNS1_3repE0EEENS1_30default_config_static_selectorELNS0_4arch9wavefront6targetE0EEEvT1_.num_agpr, 0
	.set _ZN7rocprim17ROCPRIM_400000_NS6detail17trampoline_kernelINS0_14default_configENS1_20scan_config_selectorIjEEZZNS1_9scan_implILNS1_25lookback_scan_determinismE0ELb1ELb1ES3_PjS8_jN6hipcub16HIPCUB_304000_NS3SumEjEEDaPvRmT3_T4_T5_mT6_P12ihipStream_tbENKUlT_T0_E_clISt17integral_constantIbLb0EESO_IbLb1EEEEDaSK_SL_EUlSK_E_NS1_11comp_targetILNS1_3genE8ELNS1_11target_archE1030ELNS1_3gpuE2ELNS1_3repE0EEENS1_30default_config_static_selectorELNS0_4arch9wavefront6targetE0EEEvT1_.numbered_sgpr, 0
	.set _ZN7rocprim17ROCPRIM_400000_NS6detail17trampoline_kernelINS0_14default_configENS1_20scan_config_selectorIjEEZZNS1_9scan_implILNS1_25lookback_scan_determinismE0ELb1ELb1ES3_PjS8_jN6hipcub16HIPCUB_304000_NS3SumEjEEDaPvRmT3_T4_T5_mT6_P12ihipStream_tbENKUlT_T0_E_clISt17integral_constantIbLb0EESO_IbLb1EEEEDaSK_SL_EUlSK_E_NS1_11comp_targetILNS1_3genE8ELNS1_11target_archE1030ELNS1_3gpuE2ELNS1_3repE0EEENS1_30default_config_static_selectorELNS0_4arch9wavefront6targetE0EEEvT1_.num_named_barrier, 0
	.set _ZN7rocprim17ROCPRIM_400000_NS6detail17trampoline_kernelINS0_14default_configENS1_20scan_config_selectorIjEEZZNS1_9scan_implILNS1_25lookback_scan_determinismE0ELb1ELb1ES3_PjS8_jN6hipcub16HIPCUB_304000_NS3SumEjEEDaPvRmT3_T4_T5_mT6_P12ihipStream_tbENKUlT_T0_E_clISt17integral_constantIbLb0EESO_IbLb1EEEEDaSK_SL_EUlSK_E_NS1_11comp_targetILNS1_3genE8ELNS1_11target_archE1030ELNS1_3gpuE2ELNS1_3repE0EEENS1_30default_config_static_selectorELNS0_4arch9wavefront6targetE0EEEvT1_.private_seg_size, 0
	.set _ZN7rocprim17ROCPRIM_400000_NS6detail17trampoline_kernelINS0_14default_configENS1_20scan_config_selectorIjEEZZNS1_9scan_implILNS1_25lookback_scan_determinismE0ELb1ELb1ES3_PjS8_jN6hipcub16HIPCUB_304000_NS3SumEjEEDaPvRmT3_T4_T5_mT6_P12ihipStream_tbENKUlT_T0_E_clISt17integral_constantIbLb0EESO_IbLb1EEEEDaSK_SL_EUlSK_E_NS1_11comp_targetILNS1_3genE8ELNS1_11target_archE1030ELNS1_3gpuE2ELNS1_3repE0EEENS1_30default_config_static_selectorELNS0_4arch9wavefront6targetE0EEEvT1_.uses_vcc, 0
	.set _ZN7rocprim17ROCPRIM_400000_NS6detail17trampoline_kernelINS0_14default_configENS1_20scan_config_selectorIjEEZZNS1_9scan_implILNS1_25lookback_scan_determinismE0ELb1ELb1ES3_PjS8_jN6hipcub16HIPCUB_304000_NS3SumEjEEDaPvRmT3_T4_T5_mT6_P12ihipStream_tbENKUlT_T0_E_clISt17integral_constantIbLb0EESO_IbLb1EEEEDaSK_SL_EUlSK_E_NS1_11comp_targetILNS1_3genE8ELNS1_11target_archE1030ELNS1_3gpuE2ELNS1_3repE0EEENS1_30default_config_static_selectorELNS0_4arch9wavefront6targetE0EEEvT1_.uses_flat_scratch, 0
	.set _ZN7rocprim17ROCPRIM_400000_NS6detail17trampoline_kernelINS0_14default_configENS1_20scan_config_selectorIjEEZZNS1_9scan_implILNS1_25lookback_scan_determinismE0ELb1ELb1ES3_PjS8_jN6hipcub16HIPCUB_304000_NS3SumEjEEDaPvRmT3_T4_T5_mT6_P12ihipStream_tbENKUlT_T0_E_clISt17integral_constantIbLb0EESO_IbLb1EEEEDaSK_SL_EUlSK_E_NS1_11comp_targetILNS1_3genE8ELNS1_11target_archE1030ELNS1_3gpuE2ELNS1_3repE0EEENS1_30default_config_static_selectorELNS0_4arch9wavefront6targetE0EEEvT1_.has_dyn_sized_stack, 0
	.set _ZN7rocprim17ROCPRIM_400000_NS6detail17trampoline_kernelINS0_14default_configENS1_20scan_config_selectorIjEEZZNS1_9scan_implILNS1_25lookback_scan_determinismE0ELb1ELb1ES3_PjS8_jN6hipcub16HIPCUB_304000_NS3SumEjEEDaPvRmT3_T4_T5_mT6_P12ihipStream_tbENKUlT_T0_E_clISt17integral_constantIbLb0EESO_IbLb1EEEEDaSK_SL_EUlSK_E_NS1_11comp_targetILNS1_3genE8ELNS1_11target_archE1030ELNS1_3gpuE2ELNS1_3repE0EEENS1_30default_config_static_selectorELNS0_4arch9wavefront6targetE0EEEvT1_.has_recursion, 0
	.set _ZN7rocprim17ROCPRIM_400000_NS6detail17trampoline_kernelINS0_14default_configENS1_20scan_config_selectorIjEEZZNS1_9scan_implILNS1_25lookback_scan_determinismE0ELb1ELb1ES3_PjS8_jN6hipcub16HIPCUB_304000_NS3SumEjEEDaPvRmT3_T4_T5_mT6_P12ihipStream_tbENKUlT_T0_E_clISt17integral_constantIbLb0EESO_IbLb1EEEEDaSK_SL_EUlSK_E_NS1_11comp_targetILNS1_3genE8ELNS1_11target_archE1030ELNS1_3gpuE2ELNS1_3repE0EEENS1_30default_config_static_selectorELNS0_4arch9wavefront6targetE0EEEvT1_.has_indirect_call, 0
	.section	.AMDGPU.csdata,"",@progbits
; Kernel info:
; codeLenInByte = 0
; TotalNumSgprs: 0
; NumVgprs: 0
; ScratchSize: 0
; MemoryBound: 0
; FloatMode: 240
; IeeeMode: 1
; LDSByteSize: 0 bytes/workgroup (compile time only)
; SGPRBlocks: 0
; VGPRBlocks: 0
; NumSGPRsForWavesPerEU: 1
; NumVGPRsForWavesPerEU: 1
; NamedBarCnt: 0
; Occupancy: 16
; WaveLimiterHint : 0
; COMPUTE_PGM_RSRC2:SCRATCH_EN: 0
; COMPUTE_PGM_RSRC2:USER_SGPR: 2
; COMPUTE_PGM_RSRC2:TRAP_HANDLER: 0
; COMPUTE_PGM_RSRC2:TGID_X_EN: 1
; COMPUTE_PGM_RSRC2:TGID_Y_EN: 0
; COMPUTE_PGM_RSRC2:TGID_Z_EN: 0
; COMPUTE_PGM_RSRC2:TIDIG_COMP_CNT: 0
	.section	.text._ZN7rocprim17ROCPRIM_400000_NS6detail17trampoline_kernelINS0_14default_configENS1_20scan_config_selectorIjEEZZNS1_9scan_implILNS1_25lookback_scan_determinismE0ELb1ELb1ES3_PjS8_jN6hipcub16HIPCUB_304000_NS3SumEjEEDaPvRmT3_T4_T5_mT6_P12ihipStream_tbENKUlT_T0_E_clISt17integral_constantIbLb0EESO_IbLb1EEEEDaSK_SL_EUlSK_E0_NS1_11comp_targetILNS1_3genE0ELNS1_11target_archE4294967295ELNS1_3gpuE0ELNS1_3repE0EEENS1_30default_config_static_selectorELNS0_4arch9wavefront6targetE0EEEvT1_,"axG",@progbits,_ZN7rocprim17ROCPRIM_400000_NS6detail17trampoline_kernelINS0_14default_configENS1_20scan_config_selectorIjEEZZNS1_9scan_implILNS1_25lookback_scan_determinismE0ELb1ELb1ES3_PjS8_jN6hipcub16HIPCUB_304000_NS3SumEjEEDaPvRmT3_T4_T5_mT6_P12ihipStream_tbENKUlT_T0_E_clISt17integral_constantIbLb0EESO_IbLb1EEEEDaSK_SL_EUlSK_E0_NS1_11comp_targetILNS1_3genE0ELNS1_11target_archE4294967295ELNS1_3gpuE0ELNS1_3repE0EEENS1_30default_config_static_selectorELNS0_4arch9wavefront6targetE0EEEvT1_,comdat
	.protected	_ZN7rocprim17ROCPRIM_400000_NS6detail17trampoline_kernelINS0_14default_configENS1_20scan_config_selectorIjEEZZNS1_9scan_implILNS1_25lookback_scan_determinismE0ELb1ELb1ES3_PjS8_jN6hipcub16HIPCUB_304000_NS3SumEjEEDaPvRmT3_T4_T5_mT6_P12ihipStream_tbENKUlT_T0_E_clISt17integral_constantIbLb0EESO_IbLb1EEEEDaSK_SL_EUlSK_E0_NS1_11comp_targetILNS1_3genE0ELNS1_11target_archE4294967295ELNS1_3gpuE0ELNS1_3repE0EEENS1_30default_config_static_selectorELNS0_4arch9wavefront6targetE0EEEvT1_ ; -- Begin function _ZN7rocprim17ROCPRIM_400000_NS6detail17trampoline_kernelINS0_14default_configENS1_20scan_config_selectorIjEEZZNS1_9scan_implILNS1_25lookback_scan_determinismE0ELb1ELb1ES3_PjS8_jN6hipcub16HIPCUB_304000_NS3SumEjEEDaPvRmT3_T4_T5_mT6_P12ihipStream_tbENKUlT_T0_E_clISt17integral_constantIbLb0EESO_IbLb1EEEEDaSK_SL_EUlSK_E0_NS1_11comp_targetILNS1_3genE0ELNS1_11target_archE4294967295ELNS1_3gpuE0ELNS1_3repE0EEENS1_30default_config_static_selectorELNS0_4arch9wavefront6targetE0EEEvT1_
	.globl	_ZN7rocprim17ROCPRIM_400000_NS6detail17trampoline_kernelINS0_14default_configENS1_20scan_config_selectorIjEEZZNS1_9scan_implILNS1_25lookback_scan_determinismE0ELb1ELb1ES3_PjS8_jN6hipcub16HIPCUB_304000_NS3SumEjEEDaPvRmT3_T4_T5_mT6_P12ihipStream_tbENKUlT_T0_E_clISt17integral_constantIbLb0EESO_IbLb1EEEEDaSK_SL_EUlSK_E0_NS1_11comp_targetILNS1_3genE0ELNS1_11target_archE4294967295ELNS1_3gpuE0ELNS1_3repE0EEENS1_30default_config_static_selectorELNS0_4arch9wavefront6targetE0EEEvT1_
	.p2align	8
	.type	_ZN7rocprim17ROCPRIM_400000_NS6detail17trampoline_kernelINS0_14default_configENS1_20scan_config_selectorIjEEZZNS1_9scan_implILNS1_25lookback_scan_determinismE0ELb1ELb1ES3_PjS8_jN6hipcub16HIPCUB_304000_NS3SumEjEEDaPvRmT3_T4_T5_mT6_P12ihipStream_tbENKUlT_T0_E_clISt17integral_constantIbLb0EESO_IbLb1EEEEDaSK_SL_EUlSK_E0_NS1_11comp_targetILNS1_3genE0ELNS1_11target_archE4294967295ELNS1_3gpuE0ELNS1_3repE0EEENS1_30default_config_static_selectorELNS0_4arch9wavefront6targetE0EEEvT1_,@function
_ZN7rocprim17ROCPRIM_400000_NS6detail17trampoline_kernelINS0_14default_configENS1_20scan_config_selectorIjEEZZNS1_9scan_implILNS1_25lookback_scan_determinismE0ELb1ELb1ES3_PjS8_jN6hipcub16HIPCUB_304000_NS3SumEjEEDaPvRmT3_T4_T5_mT6_P12ihipStream_tbENKUlT_T0_E_clISt17integral_constantIbLb0EESO_IbLb1EEEEDaSK_SL_EUlSK_E0_NS1_11comp_targetILNS1_3genE0ELNS1_11target_archE4294967295ELNS1_3gpuE0ELNS1_3repE0EEENS1_30default_config_static_selectorELNS0_4arch9wavefront6targetE0EEEvT1_: ; @_ZN7rocprim17ROCPRIM_400000_NS6detail17trampoline_kernelINS0_14default_configENS1_20scan_config_selectorIjEEZZNS1_9scan_implILNS1_25lookback_scan_determinismE0ELb1ELb1ES3_PjS8_jN6hipcub16HIPCUB_304000_NS3SumEjEEDaPvRmT3_T4_T5_mT6_P12ihipStream_tbENKUlT_T0_E_clISt17integral_constantIbLb0EESO_IbLb1EEEEDaSK_SL_EUlSK_E0_NS1_11comp_targetILNS1_3genE0ELNS1_11target_archE4294967295ELNS1_3gpuE0ELNS1_3repE0EEENS1_30default_config_static_selectorELNS0_4arch9wavefront6targetE0EEEvT1_
; %bb.0:
	s_load_b128 s[16:19], s[0:1], 0x0
	s_wait_kmcnt 0x0
	v_cmp_gt_u32_e32 vcc_lo, s18, v0
	s_load_b32 s19, s[16:17], 0x0
	s_wait_kmcnt 0x0
	v_mov_b32_e32 v1, s19
	s_and_saveexec_b32 s2, vcc_lo
	s_cbranch_execz .LBB76_2
; %bb.1:
	global_load_b32 v1, v0, s[16:17] scale_offset
.LBB76_2:
	s_wait_xcnt 0x0
	s_or_b32 exec_lo, exec_lo, s2
	v_or_b32_e32 v2, 0x100, v0
	s_delay_alu instid0(VALU_DEP_1)
	v_cmp_gt_u32_e64 s2, s18, v2
	v_mov_b32_e32 v2, s19
	s_and_saveexec_b32 s3, s2
	s_cbranch_execz .LBB76_4
; %bb.3:
	global_load_b32 v2, v0, s[16:17] offset:1024 scale_offset
.LBB76_4:
	s_wait_xcnt 0x0
	s_or_b32 exec_lo, exec_lo, s3
	v_or_b32_e32 v3, 0x200, v0
	s_delay_alu instid0(VALU_DEP_1)
	v_cmp_gt_u32_e64 s3, s18, v3
	v_mov_b32_e32 v3, s19
	s_and_saveexec_b32 s4, s3
	s_cbranch_execz .LBB76_6
; %bb.5:
	global_load_b32 v3, v0, s[16:17] offset:2048 scale_offset
.LBB76_6:
	;; [unrolled: 11-line block ×12, first 2 shown]
	s_wait_xcnt 0x0
	s_or_b32 exec_lo, exec_lo, s14
	v_or_b32_e32 v14, 0xd00, v0
	s_delay_alu instid0(VALU_DEP_1) | instskip(SKIP_2) | instid1(SALU_CYCLE_1)
	v_cmp_gt_u32_e64 s14, s18, v14
	v_cmp_le_u32_e64 s15, s18, v14
	s_and_saveexec_b32 s18, s15
	s_xor_b32 s15, exec_lo, s18
	s_delay_alu instid0(SALU_CYCLE_1)
	s_or_saveexec_b32 s15, s15
	v_mov_b32_e32 v14, s19
	s_xor_b32 exec_lo, exec_lo, s15
	s_cbranch_execz .LBB76_28
; %bb.27:
	global_load_b32 v14, v0, s[16:17] offset:13312 scale_offset
.LBB76_28:
	s_wait_xcnt 0x0
	s_or_b32 exec_lo, exec_lo, s15
	v_lshlrev_b32_e32 v16, 2, v0
	s_load_b32 s18, s[0:1], 0x10
	v_or_b32_e32 v19, 31, v0
	s_mov_b32 s16, exec_lo
	s_wait_loadcnt 0x0
	ds_store_2addr_stride64_b32 v16, v1, v2 offset1:4
	ds_store_2addr_stride64_b32 v16, v3, v4 offset0:8 offset1:12
	ds_store_2addr_stride64_b32 v16, v5, v6 offset0:16 offset1:20
	;; [unrolled: 1-line block ×6, first 2 shown]
	v_mad_u32_u24 v1, v0, 52, v16
	s_wait_dscnt 0x0
	s_barrier_signal -1
	s_barrier_wait -1
	ds_load_2addr_b64 v[10:13], v1 offset1:1
	ds_load_2addr_b64 v[6:9], v1 offset0:2 offset1:3
	ds_load_2addr_b64 v[2:5], v1 offset0:4 offset1:5
	s_wait_dscnt 0x2
	v_add_nc_u32_e32 v14, v11, v10
	s_delay_alu instid0(VALU_DEP_1)
	v_add3_u32 v17, v14, v12, v13
	ds_load_b64 v[14:15], v1 offset:48
	s_wait_dscnt 0x0
	s_barrier_signal -1
	s_barrier_wait -1
	v_add3_u32 v1, v17, v6, v7
	s_delay_alu instid0(VALU_DEP_1) | instskip(NEXT) | instid1(VALU_DEP_1)
	v_add3_u32 v1, v1, v8, v9
	v_add3_u32 v1, v1, v2, v3
	s_delay_alu instid0(VALU_DEP_1) | instskip(SKIP_1) | instid1(VALU_DEP_2)
	v_add3_u32 v17, v1, v4, v5
	v_mbcnt_lo_u32_b32 v1, -1, 0
	v_add3_u32 v15, v17, v14, v15
	s_delay_alu instid0(VALU_DEP_1) | instskip(NEXT) | instid1(VALU_DEP_3)
	v_mov_b32_dpp v18, v15 row_shr:1 row_mask:0xf bank_mask:0xf
	v_and_b32_e32 v17, 15, v1
	s_delay_alu instid0(VALU_DEP_1) | instskip(NEXT) | instid1(VALU_DEP_1)
	v_cmp_ne_u32_e64 s15, 0, v17
	v_cndmask_b32_e64 v18, 0, v18, s15
	v_cmp_lt_u32_e64 s15, 1, v17
	s_delay_alu instid0(VALU_DEP_2) | instskip(NEXT) | instid1(VALU_DEP_1)
	v_add_nc_u32_e32 v15, v18, v15
	v_mov_b32_dpp v18, v15 row_shr:2 row_mask:0xf bank_mask:0xf
	s_delay_alu instid0(VALU_DEP_1) | instskip(SKIP_1) | instid1(VALU_DEP_2)
	v_cndmask_b32_e64 v18, 0, v18, s15
	v_cmp_lt_u32_e64 s15, 3, v17
	v_add_nc_u32_e32 v15, v15, v18
	s_delay_alu instid0(VALU_DEP_1) | instskip(NEXT) | instid1(VALU_DEP_1)
	v_mov_b32_dpp v18, v15 row_shr:4 row_mask:0xf bank_mask:0xf
	v_cndmask_b32_e64 v18, 0, v18, s15
	v_cmp_lt_u32_e64 s15, 7, v17
	s_delay_alu instid0(VALU_DEP_2) | instskip(NEXT) | instid1(VALU_DEP_1)
	v_add_nc_u32_e32 v15, v15, v18
	v_mov_b32_dpp v18, v15 row_shr:8 row_mask:0xf bank_mask:0xf
	s_delay_alu instid0(VALU_DEP_1) | instskip(SKIP_1) | instid1(VALU_DEP_2)
	v_cndmask_b32_e64 v17, 0, v18, s15
	v_bfe_i32 v18, v1, 4, 1
	v_add_nc_u32_e32 v15, v15, v17
	ds_swizzle_b32 v17, v15 offset:swizzle(BROADCAST,32,15)
	s_wait_dscnt 0x0
	v_dual_lshrrev_b32 v17, 5, v0 :: v_dual_bitop2_b32 v18, v18, v17 bitop3:0x40
	s_delay_alu instid0(VALU_DEP_1)
	v_add_nc_u32_e32 v15, v15, v18
	v_cmpx_eq_u32_e64 v0, v19
; %bb.29:
	s_delay_alu instid0(VALU_DEP_3)
	v_lshlrev_b32_e32 v18, 2, v17
	ds_store_b32 v18, v15
; %bb.30:
	s_or_b32 exec_lo, exec_lo, s16
	s_delay_alu instid0(SALU_CYCLE_1)
	s_mov_b32 s16, exec_lo
	s_wait_dscnt 0x0
	s_barrier_signal -1
	s_barrier_wait -1
	v_cmpx_gt_u32_e32 8, v0
	s_cbranch_execz .LBB76_32
; %bb.31:
	ds_load_b32 v18, v16
	s_wait_dscnt 0x0
	v_mov_b32_dpp v20, v18 row_shr:1 row_mask:0xf bank_mask:0xf
	v_and_b32_e32 v19, 7, v1
	s_delay_alu instid0(VALU_DEP_1) | instskip(NEXT) | instid1(VALU_DEP_1)
	v_cmp_ne_u32_e64 s15, 0, v19
	v_cndmask_b32_e64 v20, 0, v20, s15
	v_cmp_lt_u32_e64 s15, 1, v19
	s_delay_alu instid0(VALU_DEP_2) | instskip(NEXT) | instid1(VALU_DEP_1)
	v_add_nc_u32_e32 v18, v20, v18
	v_mov_b32_dpp v20, v18 row_shr:2 row_mask:0xf bank_mask:0xf
	s_delay_alu instid0(VALU_DEP_1) | instskip(SKIP_1) | instid1(VALU_DEP_2)
	v_cndmask_b32_e64 v20, 0, v20, s15
	v_cmp_lt_u32_e64 s15, 3, v19
	v_add_nc_u32_e32 v18, v18, v20
	s_delay_alu instid0(VALU_DEP_1) | instskip(NEXT) | instid1(VALU_DEP_1)
	v_mov_b32_dpp v20, v18 row_shr:4 row_mask:0xf bank_mask:0xf
	v_cndmask_b32_e64 v19, 0, v20, s15
	s_delay_alu instid0(VALU_DEP_1)
	v_add_nc_u32_e32 v18, v18, v19
	ds_store_b32 v16, v18
.LBB76_32:
	s_or_b32 exec_lo, exec_lo, s16
	s_load_b64 s[16:17], s[0:1], 0x18
	v_mul_u32_u24_e32 v18, 52, v0
	s_wait_kmcnt 0x0
	v_mov_b32_e32 v19, s18
	s_mov_b32 s1, exec_lo
	s_wait_dscnt 0x0
	s_barrier_signal -1
	s_barrier_wait -1
	v_cmpx_lt_u32_e32 31, v0
	s_cbranch_execz .LBB76_34
; %bb.33:
	v_lshl_add_u32 v17, v17, 2, -4
	ds_load_b32 v17, v17
	s_wait_dscnt 0x0
	v_add_nc_u32_e32 v19, s18, v17
.LBB76_34:
	s_or_b32 exec_lo, exec_lo, s1
	v_sub_co_u32 v17, s0, v1, 1
	s_barrier_signal -1
	s_barrier_wait -1
	s_delay_alu instid0(VALU_DEP_1) | instskip(NEXT) | instid1(VALU_DEP_1)
	v_cmp_gt_i32_e64 s1, 0, v17
	v_dual_add_nc_u32 v15, v19, v15 :: v_dual_cndmask_b32 v1, v17, v1, s1
	s_delay_alu instid0(VALU_DEP_1)
	v_lshlrev_b32_e32 v1, 2, v1
	ds_bpermute_b32 v1, v1, v15
	s_wait_dscnt 0x0
	v_cndmask_b32_e64 v1, v1, v19, s0
	v_cmp_eq_u32_e64 s0, 0, v0
	v_lshlrev_b32_e32 v0, 2, v0
	s_delay_alu instid0(VALU_DEP_2) | instskip(SKIP_1) | instid1(VALU_DEP_2)
	v_cndmask_b32_e64 v20, v1, s18, s0
	v_add_nc_u32_e32 v1, v16, v18
	v_add_nc_u32_e32 v21, v20, v10
	s_delay_alu instid0(VALU_DEP_1) | instskip(NEXT) | instid1(VALU_DEP_1)
	v_add_nc_u32_e32 v10, v21, v11
	v_add_nc_u32_e32 v11, v10, v12
	s_delay_alu instid0(VALU_DEP_1) | instskip(NEXT) | instid1(VALU_DEP_1)
	;; [unrolled: 3-line block ×6, first 2 shown]
	v_add_nc_u32_e32 v4, v3, v5
	v_add_nc_u32_e32 v5, v4, v14
	ds_store_2addr_b64 v1, v[20:21], v[10:11] offset1:1
	ds_store_2addr_b64 v1, v[12:13], v[6:7] offset0:2 offset1:3
	ds_store_2addr_b64 v1, v[8:9], v[2:3] offset0:4 offset1:5
	ds_store_b64 v1, v[4:5] offset:48
	s_wait_dscnt 0x0
	s_barrier_signal -1
	s_barrier_wait -1
	ds_load_2addr_stride64_b32 v[12:13], v16 offset0:4 offset1:8
	ds_load_2addr_stride64_b32 v[10:11], v16 offset0:12 offset1:16
	;; [unrolled: 1-line block ×6, first 2 shown]
	ds_load_b32 v14, v16 offset:13312
	v_mov_b32_e32 v1, 0
	s_delay_alu instid0(VALU_DEP_1)
	v_add_nc_u64_e32 v[0:1], s[16:17], v[0:1]
	s_and_saveexec_b32 s0, vcc_lo
	s_cbranch_execnz .LBB76_49
; %bb.35:
	s_or_b32 exec_lo, exec_lo, s0
	s_and_saveexec_b32 s0, s2
	s_cbranch_execnz .LBB76_50
.LBB76_36:
	s_or_b32 exec_lo, exec_lo, s0
	s_and_saveexec_b32 s0, s3
	s_cbranch_execnz .LBB76_51
.LBB76_37:
	s_or_b32 exec_lo, exec_lo, s0
	s_and_saveexec_b32 s0, s4
	s_cbranch_execnz .LBB76_52
.LBB76_38:
	s_or_b32 exec_lo, exec_lo, s0
	s_and_saveexec_b32 s0, s5
	s_cbranch_execnz .LBB76_53
.LBB76_39:
	s_or_b32 exec_lo, exec_lo, s0
	s_and_saveexec_b32 s0, s6
	s_cbranch_execnz .LBB76_54
.LBB76_40:
	s_or_b32 exec_lo, exec_lo, s0
	s_and_saveexec_b32 s0, s7
	s_cbranch_execnz .LBB76_55
.LBB76_41:
	s_or_b32 exec_lo, exec_lo, s0
	s_and_saveexec_b32 s0, s8
	s_cbranch_execnz .LBB76_56
.LBB76_42:
	s_or_b32 exec_lo, exec_lo, s0
	s_and_saveexec_b32 s0, s9
	s_cbranch_execnz .LBB76_57
.LBB76_43:
	s_or_b32 exec_lo, exec_lo, s0
	s_and_saveexec_b32 s0, s10
	s_cbranch_execnz .LBB76_58
.LBB76_44:
	s_or_b32 exec_lo, exec_lo, s0
	s_and_saveexec_b32 s0, s11
	s_cbranch_execnz .LBB76_59
.LBB76_45:
	s_or_b32 exec_lo, exec_lo, s0
	s_and_saveexec_b32 s0, s12
	s_cbranch_execnz .LBB76_60
.LBB76_46:
	s_or_b32 exec_lo, exec_lo, s0
	s_and_saveexec_b32 s0, s13
	s_cbranch_execnz .LBB76_61
.LBB76_47:
	s_or_b32 exec_lo, exec_lo, s0
	s_and_saveexec_b32 s0, s14
	s_cbranch_execnz .LBB76_62
.LBB76_48:
	s_endpgm
.LBB76_49:
	ds_load_b32 v15, v16
	s_wait_dscnt 0x0
	global_store_b32 v[0:1], v15, off
	s_wait_xcnt 0x0
	s_or_b32 exec_lo, exec_lo, s0
	s_and_saveexec_b32 s0, s2
	s_cbranch_execz .LBB76_36
.LBB76_50:
	s_wait_dscnt 0x6
	global_store_b32 v[0:1], v12, off offset:1024
	s_wait_xcnt 0x0
	s_or_b32 exec_lo, exec_lo, s0
	s_and_saveexec_b32 s0, s3
	s_cbranch_execz .LBB76_37
.LBB76_51:
	s_wait_dscnt 0x6
	global_store_b32 v[0:1], v13, off offset:2048
	s_wait_xcnt 0x0
	s_or_b32 exec_lo, exec_lo, s0
	s_and_saveexec_b32 s0, s4
	s_cbranch_execz .LBB76_38
.LBB76_52:
	s_wait_dscnt 0x5
	global_store_b32 v[0:1], v10, off offset:3072
	s_wait_xcnt 0x0
	s_or_b32 exec_lo, exec_lo, s0
	s_and_saveexec_b32 s0, s5
	s_cbranch_execz .LBB76_39
.LBB76_53:
	s_wait_dscnt 0x5
	global_store_b32 v[0:1], v11, off offset:4096
	s_wait_xcnt 0x0
	s_or_b32 exec_lo, exec_lo, s0
	s_and_saveexec_b32 s0, s6
	s_cbranch_execz .LBB76_40
.LBB76_54:
	s_wait_dscnt 0x4
	global_store_b32 v[0:1], v8, off offset:5120
	s_wait_xcnt 0x0
	s_or_b32 exec_lo, exec_lo, s0
	s_and_saveexec_b32 s0, s7
	s_cbranch_execz .LBB76_41
.LBB76_55:
	s_wait_dscnt 0x4
	global_store_b32 v[0:1], v9, off offset:6144
	s_wait_xcnt 0x0
	s_or_b32 exec_lo, exec_lo, s0
	s_and_saveexec_b32 s0, s8
	s_cbranch_execz .LBB76_42
.LBB76_56:
	s_wait_dscnt 0x3
	global_store_b32 v[0:1], v6, off offset:7168
	s_wait_xcnt 0x0
	s_or_b32 exec_lo, exec_lo, s0
	s_and_saveexec_b32 s0, s9
	s_cbranch_execz .LBB76_43
.LBB76_57:
	s_wait_dscnt 0x3
	global_store_b32 v[0:1], v7, off offset:8192
	s_wait_xcnt 0x0
	s_or_b32 exec_lo, exec_lo, s0
	s_and_saveexec_b32 s0, s10
	s_cbranch_execz .LBB76_44
.LBB76_58:
	s_wait_dscnt 0x2
	global_store_b32 v[0:1], v4, off offset:9216
	s_wait_xcnt 0x0
	s_or_b32 exec_lo, exec_lo, s0
	s_and_saveexec_b32 s0, s11
	s_cbranch_execz .LBB76_45
.LBB76_59:
	s_wait_dscnt 0x2
	global_store_b32 v[0:1], v5, off offset:10240
	s_wait_xcnt 0x0
	s_or_b32 exec_lo, exec_lo, s0
	s_and_saveexec_b32 s0, s12
	s_cbranch_execz .LBB76_46
.LBB76_60:
	s_wait_dscnt 0x1
	global_store_b32 v[0:1], v2, off offset:11264
	s_wait_xcnt 0x0
	s_or_b32 exec_lo, exec_lo, s0
	s_and_saveexec_b32 s0, s13
	s_cbranch_execz .LBB76_47
.LBB76_61:
	s_wait_dscnt 0x1
	global_store_b32 v[0:1], v3, off offset:12288
	s_wait_xcnt 0x0
	s_or_b32 exec_lo, exec_lo, s0
	s_and_saveexec_b32 s0, s14
	s_cbranch_execz .LBB76_48
.LBB76_62:
	s_wait_dscnt 0x0
	global_store_b32 v[0:1], v14, off offset:13312
	s_endpgm
	.section	.rodata,"a",@progbits
	.p2align	6, 0x0
	.amdhsa_kernel _ZN7rocprim17ROCPRIM_400000_NS6detail17trampoline_kernelINS0_14default_configENS1_20scan_config_selectorIjEEZZNS1_9scan_implILNS1_25lookback_scan_determinismE0ELb1ELb1ES3_PjS8_jN6hipcub16HIPCUB_304000_NS3SumEjEEDaPvRmT3_T4_T5_mT6_P12ihipStream_tbENKUlT_T0_E_clISt17integral_constantIbLb0EESO_IbLb1EEEEDaSK_SL_EUlSK_E0_NS1_11comp_targetILNS1_3genE0ELNS1_11target_archE4294967295ELNS1_3gpuE0ELNS1_3repE0EEENS1_30default_config_static_selectorELNS0_4arch9wavefront6targetE0EEEvT1_
		.amdhsa_group_segment_fixed_size 14336
		.amdhsa_private_segment_fixed_size 0
		.amdhsa_kernarg_size 32
		.amdhsa_user_sgpr_count 2
		.amdhsa_user_sgpr_dispatch_ptr 0
		.amdhsa_user_sgpr_queue_ptr 0
		.amdhsa_user_sgpr_kernarg_segment_ptr 1
		.amdhsa_user_sgpr_dispatch_id 0
		.amdhsa_user_sgpr_kernarg_preload_length 0
		.amdhsa_user_sgpr_kernarg_preload_offset 0
		.amdhsa_user_sgpr_private_segment_size 0
		.amdhsa_wavefront_size32 1
		.amdhsa_uses_dynamic_stack 0
		.amdhsa_enable_private_segment 0
		.amdhsa_system_sgpr_workgroup_id_x 1
		.amdhsa_system_sgpr_workgroup_id_y 0
		.amdhsa_system_sgpr_workgroup_id_z 0
		.amdhsa_system_sgpr_workgroup_info 0
		.amdhsa_system_vgpr_workitem_id 0
		.amdhsa_next_free_vgpr 22
		.amdhsa_next_free_sgpr 20
		.amdhsa_named_barrier_count 0
		.amdhsa_reserve_vcc 1
		.amdhsa_float_round_mode_32 0
		.amdhsa_float_round_mode_16_64 0
		.amdhsa_float_denorm_mode_32 3
		.amdhsa_float_denorm_mode_16_64 3
		.amdhsa_fp16_overflow 0
		.amdhsa_memory_ordered 1
		.amdhsa_forward_progress 1
		.amdhsa_inst_pref_size 19
		.amdhsa_round_robin_scheduling 0
		.amdhsa_exception_fp_ieee_invalid_op 0
		.amdhsa_exception_fp_denorm_src 0
		.amdhsa_exception_fp_ieee_div_zero 0
		.amdhsa_exception_fp_ieee_overflow 0
		.amdhsa_exception_fp_ieee_underflow 0
		.amdhsa_exception_fp_ieee_inexact 0
		.amdhsa_exception_int_div_zero 0
	.end_amdhsa_kernel
	.section	.text._ZN7rocprim17ROCPRIM_400000_NS6detail17trampoline_kernelINS0_14default_configENS1_20scan_config_selectorIjEEZZNS1_9scan_implILNS1_25lookback_scan_determinismE0ELb1ELb1ES3_PjS8_jN6hipcub16HIPCUB_304000_NS3SumEjEEDaPvRmT3_T4_T5_mT6_P12ihipStream_tbENKUlT_T0_E_clISt17integral_constantIbLb0EESO_IbLb1EEEEDaSK_SL_EUlSK_E0_NS1_11comp_targetILNS1_3genE0ELNS1_11target_archE4294967295ELNS1_3gpuE0ELNS1_3repE0EEENS1_30default_config_static_selectorELNS0_4arch9wavefront6targetE0EEEvT1_,"axG",@progbits,_ZN7rocprim17ROCPRIM_400000_NS6detail17trampoline_kernelINS0_14default_configENS1_20scan_config_selectorIjEEZZNS1_9scan_implILNS1_25lookback_scan_determinismE0ELb1ELb1ES3_PjS8_jN6hipcub16HIPCUB_304000_NS3SumEjEEDaPvRmT3_T4_T5_mT6_P12ihipStream_tbENKUlT_T0_E_clISt17integral_constantIbLb0EESO_IbLb1EEEEDaSK_SL_EUlSK_E0_NS1_11comp_targetILNS1_3genE0ELNS1_11target_archE4294967295ELNS1_3gpuE0ELNS1_3repE0EEENS1_30default_config_static_selectorELNS0_4arch9wavefront6targetE0EEEvT1_,comdat
.Lfunc_end76:
	.size	_ZN7rocprim17ROCPRIM_400000_NS6detail17trampoline_kernelINS0_14default_configENS1_20scan_config_selectorIjEEZZNS1_9scan_implILNS1_25lookback_scan_determinismE0ELb1ELb1ES3_PjS8_jN6hipcub16HIPCUB_304000_NS3SumEjEEDaPvRmT3_T4_T5_mT6_P12ihipStream_tbENKUlT_T0_E_clISt17integral_constantIbLb0EESO_IbLb1EEEEDaSK_SL_EUlSK_E0_NS1_11comp_targetILNS1_3genE0ELNS1_11target_archE4294967295ELNS1_3gpuE0ELNS1_3repE0EEENS1_30default_config_static_selectorELNS0_4arch9wavefront6targetE0EEEvT1_, .Lfunc_end76-_ZN7rocprim17ROCPRIM_400000_NS6detail17trampoline_kernelINS0_14default_configENS1_20scan_config_selectorIjEEZZNS1_9scan_implILNS1_25lookback_scan_determinismE0ELb1ELb1ES3_PjS8_jN6hipcub16HIPCUB_304000_NS3SumEjEEDaPvRmT3_T4_T5_mT6_P12ihipStream_tbENKUlT_T0_E_clISt17integral_constantIbLb0EESO_IbLb1EEEEDaSK_SL_EUlSK_E0_NS1_11comp_targetILNS1_3genE0ELNS1_11target_archE4294967295ELNS1_3gpuE0ELNS1_3repE0EEENS1_30default_config_static_selectorELNS0_4arch9wavefront6targetE0EEEvT1_
                                        ; -- End function
	.set _ZN7rocprim17ROCPRIM_400000_NS6detail17trampoline_kernelINS0_14default_configENS1_20scan_config_selectorIjEEZZNS1_9scan_implILNS1_25lookback_scan_determinismE0ELb1ELb1ES3_PjS8_jN6hipcub16HIPCUB_304000_NS3SumEjEEDaPvRmT3_T4_T5_mT6_P12ihipStream_tbENKUlT_T0_E_clISt17integral_constantIbLb0EESO_IbLb1EEEEDaSK_SL_EUlSK_E0_NS1_11comp_targetILNS1_3genE0ELNS1_11target_archE4294967295ELNS1_3gpuE0ELNS1_3repE0EEENS1_30default_config_static_selectorELNS0_4arch9wavefront6targetE0EEEvT1_.num_vgpr, 22
	.set _ZN7rocprim17ROCPRIM_400000_NS6detail17trampoline_kernelINS0_14default_configENS1_20scan_config_selectorIjEEZZNS1_9scan_implILNS1_25lookback_scan_determinismE0ELb1ELb1ES3_PjS8_jN6hipcub16HIPCUB_304000_NS3SumEjEEDaPvRmT3_T4_T5_mT6_P12ihipStream_tbENKUlT_T0_E_clISt17integral_constantIbLb0EESO_IbLb1EEEEDaSK_SL_EUlSK_E0_NS1_11comp_targetILNS1_3genE0ELNS1_11target_archE4294967295ELNS1_3gpuE0ELNS1_3repE0EEENS1_30default_config_static_selectorELNS0_4arch9wavefront6targetE0EEEvT1_.num_agpr, 0
	.set _ZN7rocprim17ROCPRIM_400000_NS6detail17trampoline_kernelINS0_14default_configENS1_20scan_config_selectorIjEEZZNS1_9scan_implILNS1_25lookback_scan_determinismE0ELb1ELb1ES3_PjS8_jN6hipcub16HIPCUB_304000_NS3SumEjEEDaPvRmT3_T4_T5_mT6_P12ihipStream_tbENKUlT_T0_E_clISt17integral_constantIbLb0EESO_IbLb1EEEEDaSK_SL_EUlSK_E0_NS1_11comp_targetILNS1_3genE0ELNS1_11target_archE4294967295ELNS1_3gpuE0ELNS1_3repE0EEENS1_30default_config_static_selectorELNS0_4arch9wavefront6targetE0EEEvT1_.numbered_sgpr, 20
	.set _ZN7rocprim17ROCPRIM_400000_NS6detail17trampoline_kernelINS0_14default_configENS1_20scan_config_selectorIjEEZZNS1_9scan_implILNS1_25lookback_scan_determinismE0ELb1ELb1ES3_PjS8_jN6hipcub16HIPCUB_304000_NS3SumEjEEDaPvRmT3_T4_T5_mT6_P12ihipStream_tbENKUlT_T0_E_clISt17integral_constantIbLb0EESO_IbLb1EEEEDaSK_SL_EUlSK_E0_NS1_11comp_targetILNS1_3genE0ELNS1_11target_archE4294967295ELNS1_3gpuE0ELNS1_3repE0EEENS1_30default_config_static_selectorELNS0_4arch9wavefront6targetE0EEEvT1_.num_named_barrier, 0
	.set _ZN7rocprim17ROCPRIM_400000_NS6detail17trampoline_kernelINS0_14default_configENS1_20scan_config_selectorIjEEZZNS1_9scan_implILNS1_25lookback_scan_determinismE0ELb1ELb1ES3_PjS8_jN6hipcub16HIPCUB_304000_NS3SumEjEEDaPvRmT3_T4_T5_mT6_P12ihipStream_tbENKUlT_T0_E_clISt17integral_constantIbLb0EESO_IbLb1EEEEDaSK_SL_EUlSK_E0_NS1_11comp_targetILNS1_3genE0ELNS1_11target_archE4294967295ELNS1_3gpuE0ELNS1_3repE0EEENS1_30default_config_static_selectorELNS0_4arch9wavefront6targetE0EEEvT1_.private_seg_size, 0
	.set _ZN7rocprim17ROCPRIM_400000_NS6detail17trampoline_kernelINS0_14default_configENS1_20scan_config_selectorIjEEZZNS1_9scan_implILNS1_25lookback_scan_determinismE0ELb1ELb1ES3_PjS8_jN6hipcub16HIPCUB_304000_NS3SumEjEEDaPvRmT3_T4_T5_mT6_P12ihipStream_tbENKUlT_T0_E_clISt17integral_constantIbLb0EESO_IbLb1EEEEDaSK_SL_EUlSK_E0_NS1_11comp_targetILNS1_3genE0ELNS1_11target_archE4294967295ELNS1_3gpuE0ELNS1_3repE0EEENS1_30default_config_static_selectorELNS0_4arch9wavefront6targetE0EEEvT1_.uses_vcc, 1
	.set _ZN7rocprim17ROCPRIM_400000_NS6detail17trampoline_kernelINS0_14default_configENS1_20scan_config_selectorIjEEZZNS1_9scan_implILNS1_25lookback_scan_determinismE0ELb1ELb1ES3_PjS8_jN6hipcub16HIPCUB_304000_NS3SumEjEEDaPvRmT3_T4_T5_mT6_P12ihipStream_tbENKUlT_T0_E_clISt17integral_constantIbLb0EESO_IbLb1EEEEDaSK_SL_EUlSK_E0_NS1_11comp_targetILNS1_3genE0ELNS1_11target_archE4294967295ELNS1_3gpuE0ELNS1_3repE0EEENS1_30default_config_static_selectorELNS0_4arch9wavefront6targetE0EEEvT1_.uses_flat_scratch, 0
	.set _ZN7rocprim17ROCPRIM_400000_NS6detail17trampoline_kernelINS0_14default_configENS1_20scan_config_selectorIjEEZZNS1_9scan_implILNS1_25lookback_scan_determinismE0ELb1ELb1ES3_PjS8_jN6hipcub16HIPCUB_304000_NS3SumEjEEDaPvRmT3_T4_T5_mT6_P12ihipStream_tbENKUlT_T0_E_clISt17integral_constantIbLb0EESO_IbLb1EEEEDaSK_SL_EUlSK_E0_NS1_11comp_targetILNS1_3genE0ELNS1_11target_archE4294967295ELNS1_3gpuE0ELNS1_3repE0EEENS1_30default_config_static_selectorELNS0_4arch9wavefront6targetE0EEEvT1_.has_dyn_sized_stack, 0
	.set _ZN7rocprim17ROCPRIM_400000_NS6detail17trampoline_kernelINS0_14default_configENS1_20scan_config_selectorIjEEZZNS1_9scan_implILNS1_25lookback_scan_determinismE0ELb1ELb1ES3_PjS8_jN6hipcub16HIPCUB_304000_NS3SumEjEEDaPvRmT3_T4_T5_mT6_P12ihipStream_tbENKUlT_T0_E_clISt17integral_constantIbLb0EESO_IbLb1EEEEDaSK_SL_EUlSK_E0_NS1_11comp_targetILNS1_3genE0ELNS1_11target_archE4294967295ELNS1_3gpuE0ELNS1_3repE0EEENS1_30default_config_static_selectorELNS0_4arch9wavefront6targetE0EEEvT1_.has_recursion, 0
	.set _ZN7rocprim17ROCPRIM_400000_NS6detail17trampoline_kernelINS0_14default_configENS1_20scan_config_selectorIjEEZZNS1_9scan_implILNS1_25lookback_scan_determinismE0ELb1ELb1ES3_PjS8_jN6hipcub16HIPCUB_304000_NS3SumEjEEDaPvRmT3_T4_T5_mT6_P12ihipStream_tbENKUlT_T0_E_clISt17integral_constantIbLb0EESO_IbLb1EEEEDaSK_SL_EUlSK_E0_NS1_11comp_targetILNS1_3genE0ELNS1_11target_archE4294967295ELNS1_3gpuE0ELNS1_3repE0EEENS1_30default_config_static_selectorELNS0_4arch9wavefront6targetE0EEEvT1_.has_indirect_call, 0
	.section	.AMDGPU.csdata,"",@progbits
; Kernel info:
; codeLenInByte = 2320
; TotalNumSgprs: 22
; NumVgprs: 22
; ScratchSize: 0
; MemoryBound: 0
; FloatMode: 240
; IeeeMode: 1
; LDSByteSize: 14336 bytes/workgroup (compile time only)
; SGPRBlocks: 0
; VGPRBlocks: 1
; NumSGPRsForWavesPerEU: 22
; NumVGPRsForWavesPerEU: 22
; NamedBarCnt: 0
; Occupancy: 16
; WaveLimiterHint : 0
; COMPUTE_PGM_RSRC2:SCRATCH_EN: 0
; COMPUTE_PGM_RSRC2:USER_SGPR: 2
; COMPUTE_PGM_RSRC2:TRAP_HANDLER: 0
; COMPUTE_PGM_RSRC2:TGID_X_EN: 1
; COMPUTE_PGM_RSRC2:TGID_Y_EN: 0
; COMPUTE_PGM_RSRC2:TGID_Z_EN: 0
; COMPUTE_PGM_RSRC2:TIDIG_COMP_CNT: 0
	.section	.text._ZN7rocprim17ROCPRIM_400000_NS6detail17trampoline_kernelINS0_14default_configENS1_20scan_config_selectorIjEEZZNS1_9scan_implILNS1_25lookback_scan_determinismE0ELb1ELb1ES3_PjS8_jN6hipcub16HIPCUB_304000_NS3SumEjEEDaPvRmT3_T4_T5_mT6_P12ihipStream_tbENKUlT_T0_E_clISt17integral_constantIbLb0EESO_IbLb1EEEEDaSK_SL_EUlSK_E0_NS1_11comp_targetILNS1_3genE5ELNS1_11target_archE942ELNS1_3gpuE9ELNS1_3repE0EEENS1_30default_config_static_selectorELNS0_4arch9wavefront6targetE0EEEvT1_,"axG",@progbits,_ZN7rocprim17ROCPRIM_400000_NS6detail17trampoline_kernelINS0_14default_configENS1_20scan_config_selectorIjEEZZNS1_9scan_implILNS1_25lookback_scan_determinismE0ELb1ELb1ES3_PjS8_jN6hipcub16HIPCUB_304000_NS3SumEjEEDaPvRmT3_T4_T5_mT6_P12ihipStream_tbENKUlT_T0_E_clISt17integral_constantIbLb0EESO_IbLb1EEEEDaSK_SL_EUlSK_E0_NS1_11comp_targetILNS1_3genE5ELNS1_11target_archE942ELNS1_3gpuE9ELNS1_3repE0EEENS1_30default_config_static_selectorELNS0_4arch9wavefront6targetE0EEEvT1_,comdat
	.protected	_ZN7rocprim17ROCPRIM_400000_NS6detail17trampoline_kernelINS0_14default_configENS1_20scan_config_selectorIjEEZZNS1_9scan_implILNS1_25lookback_scan_determinismE0ELb1ELb1ES3_PjS8_jN6hipcub16HIPCUB_304000_NS3SumEjEEDaPvRmT3_T4_T5_mT6_P12ihipStream_tbENKUlT_T0_E_clISt17integral_constantIbLb0EESO_IbLb1EEEEDaSK_SL_EUlSK_E0_NS1_11comp_targetILNS1_3genE5ELNS1_11target_archE942ELNS1_3gpuE9ELNS1_3repE0EEENS1_30default_config_static_selectorELNS0_4arch9wavefront6targetE0EEEvT1_ ; -- Begin function _ZN7rocprim17ROCPRIM_400000_NS6detail17trampoline_kernelINS0_14default_configENS1_20scan_config_selectorIjEEZZNS1_9scan_implILNS1_25lookback_scan_determinismE0ELb1ELb1ES3_PjS8_jN6hipcub16HIPCUB_304000_NS3SumEjEEDaPvRmT3_T4_T5_mT6_P12ihipStream_tbENKUlT_T0_E_clISt17integral_constantIbLb0EESO_IbLb1EEEEDaSK_SL_EUlSK_E0_NS1_11comp_targetILNS1_3genE5ELNS1_11target_archE942ELNS1_3gpuE9ELNS1_3repE0EEENS1_30default_config_static_selectorELNS0_4arch9wavefront6targetE0EEEvT1_
	.globl	_ZN7rocprim17ROCPRIM_400000_NS6detail17trampoline_kernelINS0_14default_configENS1_20scan_config_selectorIjEEZZNS1_9scan_implILNS1_25lookback_scan_determinismE0ELb1ELb1ES3_PjS8_jN6hipcub16HIPCUB_304000_NS3SumEjEEDaPvRmT3_T4_T5_mT6_P12ihipStream_tbENKUlT_T0_E_clISt17integral_constantIbLb0EESO_IbLb1EEEEDaSK_SL_EUlSK_E0_NS1_11comp_targetILNS1_3genE5ELNS1_11target_archE942ELNS1_3gpuE9ELNS1_3repE0EEENS1_30default_config_static_selectorELNS0_4arch9wavefront6targetE0EEEvT1_
	.p2align	8
	.type	_ZN7rocprim17ROCPRIM_400000_NS6detail17trampoline_kernelINS0_14default_configENS1_20scan_config_selectorIjEEZZNS1_9scan_implILNS1_25lookback_scan_determinismE0ELb1ELb1ES3_PjS8_jN6hipcub16HIPCUB_304000_NS3SumEjEEDaPvRmT3_T4_T5_mT6_P12ihipStream_tbENKUlT_T0_E_clISt17integral_constantIbLb0EESO_IbLb1EEEEDaSK_SL_EUlSK_E0_NS1_11comp_targetILNS1_3genE5ELNS1_11target_archE942ELNS1_3gpuE9ELNS1_3repE0EEENS1_30default_config_static_selectorELNS0_4arch9wavefront6targetE0EEEvT1_,@function
_ZN7rocprim17ROCPRIM_400000_NS6detail17trampoline_kernelINS0_14default_configENS1_20scan_config_selectorIjEEZZNS1_9scan_implILNS1_25lookback_scan_determinismE0ELb1ELb1ES3_PjS8_jN6hipcub16HIPCUB_304000_NS3SumEjEEDaPvRmT3_T4_T5_mT6_P12ihipStream_tbENKUlT_T0_E_clISt17integral_constantIbLb0EESO_IbLb1EEEEDaSK_SL_EUlSK_E0_NS1_11comp_targetILNS1_3genE5ELNS1_11target_archE942ELNS1_3gpuE9ELNS1_3repE0EEENS1_30default_config_static_selectorELNS0_4arch9wavefront6targetE0EEEvT1_: ; @_ZN7rocprim17ROCPRIM_400000_NS6detail17trampoline_kernelINS0_14default_configENS1_20scan_config_selectorIjEEZZNS1_9scan_implILNS1_25lookback_scan_determinismE0ELb1ELb1ES3_PjS8_jN6hipcub16HIPCUB_304000_NS3SumEjEEDaPvRmT3_T4_T5_mT6_P12ihipStream_tbENKUlT_T0_E_clISt17integral_constantIbLb0EESO_IbLb1EEEEDaSK_SL_EUlSK_E0_NS1_11comp_targetILNS1_3genE5ELNS1_11target_archE942ELNS1_3gpuE9ELNS1_3repE0EEENS1_30default_config_static_selectorELNS0_4arch9wavefront6targetE0EEEvT1_
; %bb.0:
	.section	.rodata,"a",@progbits
	.p2align	6, 0x0
	.amdhsa_kernel _ZN7rocprim17ROCPRIM_400000_NS6detail17trampoline_kernelINS0_14default_configENS1_20scan_config_selectorIjEEZZNS1_9scan_implILNS1_25lookback_scan_determinismE0ELb1ELb1ES3_PjS8_jN6hipcub16HIPCUB_304000_NS3SumEjEEDaPvRmT3_T4_T5_mT6_P12ihipStream_tbENKUlT_T0_E_clISt17integral_constantIbLb0EESO_IbLb1EEEEDaSK_SL_EUlSK_E0_NS1_11comp_targetILNS1_3genE5ELNS1_11target_archE942ELNS1_3gpuE9ELNS1_3repE0EEENS1_30default_config_static_selectorELNS0_4arch9wavefront6targetE0EEEvT1_
		.amdhsa_group_segment_fixed_size 0
		.amdhsa_private_segment_fixed_size 0
		.amdhsa_kernarg_size 32
		.amdhsa_user_sgpr_count 2
		.amdhsa_user_sgpr_dispatch_ptr 0
		.amdhsa_user_sgpr_queue_ptr 0
		.amdhsa_user_sgpr_kernarg_segment_ptr 1
		.amdhsa_user_sgpr_dispatch_id 0
		.amdhsa_user_sgpr_kernarg_preload_length 0
		.amdhsa_user_sgpr_kernarg_preload_offset 0
		.amdhsa_user_sgpr_private_segment_size 0
		.amdhsa_wavefront_size32 1
		.amdhsa_uses_dynamic_stack 0
		.amdhsa_enable_private_segment 0
		.amdhsa_system_sgpr_workgroup_id_x 1
		.amdhsa_system_sgpr_workgroup_id_y 0
		.amdhsa_system_sgpr_workgroup_id_z 0
		.amdhsa_system_sgpr_workgroup_info 0
		.amdhsa_system_vgpr_workitem_id 0
		.amdhsa_next_free_vgpr 1
		.amdhsa_next_free_sgpr 1
		.amdhsa_named_barrier_count 0
		.amdhsa_reserve_vcc 0
		.amdhsa_float_round_mode_32 0
		.amdhsa_float_round_mode_16_64 0
		.amdhsa_float_denorm_mode_32 3
		.amdhsa_float_denorm_mode_16_64 3
		.amdhsa_fp16_overflow 0
		.amdhsa_memory_ordered 1
		.amdhsa_forward_progress 1
		.amdhsa_inst_pref_size 0
		.amdhsa_round_robin_scheduling 0
		.amdhsa_exception_fp_ieee_invalid_op 0
		.amdhsa_exception_fp_denorm_src 0
		.amdhsa_exception_fp_ieee_div_zero 0
		.amdhsa_exception_fp_ieee_overflow 0
		.amdhsa_exception_fp_ieee_underflow 0
		.amdhsa_exception_fp_ieee_inexact 0
		.amdhsa_exception_int_div_zero 0
	.end_amdhsa_kernel
	.section	.text._ZN7rocprim17ROCPRIM_400000_NS6detail17trampoline_kernelINS0_14default_configENS1_20scan_config_selectorIjEEZZNS1_9scan_implILNS1_25lookback_scan_determinismE0ELb1ELb1ES3_PjS8_jN6hipcub16HIPCUB_304000_NS3SumEjEEDaPvRmT3_T4_T5_mT6_P12ihipStream_tbENKUlT_T0_E_clISt17integral_constantIbLb0EESO_IbLb1EEEEDaSK_SL_EUlSK_E0_NS1_11comp_targetILNS1_3genE5ELNS1_11target_archE942ELNS1_3gpuE9ELNS1_3repE0EEENS1_30default_config_static_selectorELNS0_4arch9wavefront6targetE0EEEvT1_,"axG",@progbits,_ZN7rocprim17ROCPRIM_400000_NS6detail17trampoline_kernelINS0_14default_configENS1_20scan_config_selectorIjEEZZNS1_9scan_implILNS1_25lookback_scan_determinismE0ELb1ELb1ES3_PjS8_jN6hipcub16HIPCUB_304000_NS3SumEjEEDaPvRmT3_T4_T5_mT6_P12ihipStream_tbENKUlT_T0_E_clISt17integral_constantIbLb0EESO_IbLb1EEEEDaSK_SL_EUlSK_E0_NS1_11comp_targetILNS1_3genE5ELNS1_11target_archE942ELNS1_3gpuE9ELNS1_3repE0EEENS1_30default_config_static_selectorELNS0_4arch9wavefront6targetE0EEEvT1_,comdat
.Lfunc_end77:
	.size	_ZN7rocprim17ROCPRIM_400000_NS6detail17trampoline_kernelINS0_14default_configENS1_20scan_config_selectorIjEEZZNS1_9scan_implILNS1_25lookback_scan_determinismE0ELb1ELb1ES3_PjS8_jN6hipcub16HIPCUB_304000_NS3SumEjEEDaPvRmT3_T4_T5_mT6_P12ihipStream_tbENKUlT_T0_E_clISt17integral_constantIbLb0EESO_IbLb1EEEEDaSK_SL_EUlSK_E0_NS1_11comp_targetILNS1_3genE5ELNS1_11target_archE942ELNS1_3gpuE9ELNS1_3repE0EEENS1_30default_config_static_selectorELNS0_4arch9wavefront6targetE0EEEvT1_, .Lfunc_end77-_ZN7rocprim17ROCPRIM_400000_NS6detail17trampoline_kernelINS0_14default_configENS1_20scan_config_selectorIjEEZZNS1_9scan_implILNS1_25lookback_scan_determinismE0ELb1ELb1ES3_PjS8_jN6hipcub16HIPCUB_304000_NS3SumEjEEDaPvRmT3_T4_T5_mT6_P12ihipStream_tbENKUlT_T0_E_clISt17integral_constantIbLb0EESO_IbLb1EEEEDaSK_SL_EUlSK_E0_NS1_11comp_targetILNS1_3genE5ELNS1_11target_archE942ELNS1_3gpuE9ELNS1_3repE0EEENS1_30default_config_static_selectorELNS0_4arch9wavefront6targetE0EEEvT1_
                                        ; -- End function
	.set _ZN7rocprim17ROCPRIM_400000_NS6detail17trampoline_kernelINS0_14default_configENS1_20scan_config_selectorIjEEZZNS1_9scan_implILNS1_25lookback_scan_determinismE0ELb1ELb1ES3_PjS8_jN6hipcub16HIPCUB_304000_NS3SumEjEEDaPvRmT3_T4_T5_mT6_P12ihipStream_tbENKUlT_T0_E_clISt17integral_constantIbLb0EESO_IbLb1EEEEDaSK_SL_EUlSK_E0_NS1_11comp_targetILNS1_3genE5ELNS1_11target_archE942ELNS1_3gpuE9ELNS1_3repE0EEENS1_30default_config_static_selectorELNS0_4arch9wavefront6targetE0EEEvT1_.num_vgpr, 0
	.set _ZN7rocprim17ROCPRIM_400000_NS6detail17trampoline_kernelINS0_14default_configENS1_20scan_config_selectorIjEEZZNS1_9scan_implILNS1_25lookback_scan_determinismE0ELb1ELb1ES3_PjS8_jN6hipcub16HIPCUB_304000_NS3SumEjEEDaPvRmT3_T4_T5_mT6_P12ihipStream_tbENKUlT_T0_E_clISt17integral_constantIbLb0EESO_IbLb1EEEEDaSK_SL_EUlSK_E0_NS1_11comp_targetILNS1_3genE5ELNS1_11target_archE942ELNS1_3gpuE9ELNS1_3repE0EEENS1_30default_config_static_selectorELNS0_4arch9wavefront6targetE0EEEvT1_.num_agpr, 0
	.set _ZN7rocprim17ROCPRIM_400000_NS6detail17trampoline_kernelINS0_14default_configENS1_20scan_config_selectorIjEEZZNS1_9scan_implILNS1_25lookback_scan_determinismE0ELb1ELb1ES3_PjS8_jN6hipcub16HIPCUB_304000_NS3SumEjEEDaPvRmT3_T4_T5_mT6_P12ihipStream_tbENKUlT_T0_E_clISt17integral_constantIbLb0EESO_IbLb1EEEEDaSK_SL_EUlSK_E0_NS1_11comp_targetILNS1_3genE5ELNS1_11target_archE942ELNS1_3gpuE9ELNS1_3repE0EEENS1_30default_config_static_selectorELNS0_4arch9wavefront6targetE0EEEvT1_.numbered_sgpr, 0
	.set _ZN7rocprim17ROCPRIM_400000_NS6detail17trampoline_kernelINS0_14default_configENS1_20scan_config_selectorIjEEZZNS1_9scan_implILNS1_25lookback_scan_determinismE0ELb1ELb1ES3_PjS8_jN6hipcub16HIPCUB_304000_NS3SumEjEEDaPvRmT3_T4_T5_mT6_P12ihipStream_tbENKUlT_T0_E_clISt17integral_constantIbLb0EESO_IbLb1EEEEDaSK_SL_EUlSK_E0_NS1_11comp_targetILNS1_3genE5ELNS1_11target_archE942ELNS1_3gpuE9ELNS1_3repE0EEENS1_30default_config_static_selectorELNS0_4arch9wavefront6targetE0EEEvT1_.num_named_barrier, 0
	.set _ZN7rocprim17ROCPRIM_400000_NS6detail17trampoline_kernelINS0_14default_configENS1_20scan_config_selectorIjEEZZNS1_9scan_implILNS1_25lookback_scan_determinismE0ELb1ELb1ES3_PjS8_jN6hipcub16HIPCUB_304000_NS3SumEjEEDaPvRmT3_T4_T5_mT6_P12ihipStream_tbENKUlT_T0_E_clISt17integral_constantIbLb0EESO_IbLb1EEEEDaSK_SL_EUlSK_E0_NS1_11comp_targetILNS1_3genE5ELNS1_11target_archE942ELNS1_3gpuE9ELNS1_3repE0EEENS1_30default_config_static_selectorELNS0_4arch9wavefront6targetE0EEEvT1_.private_seg_size, 0
	.set _ZN7rocprim17ROCPRIM_400000_NS6detail17trampoline_kernelINS0_14default_configENS1_20scan_config_selectorIjEEZZNS1_9scan_implILNS1_25lookback_scan_determinismE0ELb1ELb1ES3_PjS8_jN6hipcub16HIPCUB_304000_NS3SumEjEEDaPvRmT3_T4_T5_mT6_P12ihipStream_tbENKUlT_T0_E_clISt17integral_constantIbLb0EESO_IbLb1EEEEDaSK_SL_EUlSK_E0_NS1_11comp_targetILNS1_3genE5ELNS1_11target_archE942ELNS1_3gpuE9ELNS1_3repE0EEENS1_30default_config_static_selectorELNS0_4arch9wavefront6targetE0EEEvT1_.uses_vcc, 0
	.set _ZN7rocprim17ROCPRIM_400000_NS6detail17trampoline_kernelINS0_14default_configENS1_20scan_config_selectorIjEEZZNS1_9scan_implILNS1_25lookback_scan_determinismE0ELb1ELb1ES3_PjS8_jN6hipcub16HIPCUB_304000_NS3SumEjEEDaPvRmT3_T4_T5_mT6_P12ihipStream_tbENKUlT_T0_E_clISt17integral_constantIbLb0EESO_IbLb1EEEEDaSK_SL_EUlSK_E0_NS1_11comp_targetILNS1_3genE5ELNS1_11target_archE942ELNS1_3gpuE9ELNS1_3repE0EEENS1_30default_config_static_selectorELNS0_4arch9wavefront6targetE0EEEvT1_.uses_flat_scratch, 0
	.set _ZN7rocprim17ROCPRIM_400000_NS6detail17trampoline_kernelINS0_14default_configENS1_20scan_config_selectorIjEEZZNS1_9scan_implILNS1_25lookback_scan_determinismE0ELb1ELb1ES3_PjS8_jN6hipcub16HIPCUB_304000_NS3SumEjEEDaPvRmT3_T4_T5_mT6_P12ihipStream_tbENKUlT_T0_E_clISt17integral_constantIbLb0EESO_IbLb1EEEEDaSK_SL_EUlSK_E0_NS1_11comp_targetILNS1_3genE5ELNS1_11target_archE942ELNS1_3gpuE9ELNS1_3repE0EEENS1_30default_config_static_selectorELNS0_4arch9wavefront6targetE0EEEvT1_.has_dyn_sized_stack, 0
	.set _ZN7rocprim17ROCPRIM_400000_NS6detail17trampoline_kernelINS0_14default_configENS1_20scan_config_selectorIjEEZZNS1_9scan_implILNS1_25lookback_scan_determinismE0ELb1ELb1ES3_PjS8_jN6hipcub16HIPCUB_304000_NS3SumEjEEDaPvRmT3_T4_T5_mT6_P12ihipStream_tbENKUlT_T0_E_clISt17integral_constantIbLb0EESO_IbLb1EEEEDaSK_SL_EUlSK_E0_NS1_11comp_targetILNS1_3genE5ELNS1_11target_archE942ELNS1_3gpuE9ELNS1_3repE0EEENS1_30default_config_static_selectorELNS0_4arch9wavefront6targetE0EEEvT1_.has_recursion, 0
	.set _ZN7rocprim17ROCPRIM_400000_NS6detail17trampoline_kernelINS0_14default_configENS1_20scan_config_selectorIjEEZZNS1_9scan_implILNS1_25lookback_scan_determinismE0ELb1ELb1ES3_PjS8_jN6hipcub16HIPCUB_304000_NS3SumEjEEDaPvRmT3_T4_T5_mT6_P12ihipStream_tbENKUlT_T0_E_clISt17integral_constantIbLb0EESO_IbLb1EEEEDaSK_SL_EUlSK_E0_NS1_11comp_targetILNS1_3genE5ELNS1_11target_archE942ELNS1_3gpuE9ELNS1_3repE0EEENS1_30default_config_static_selectorELNS0_4arch9wavefront6targetE0EEEvT1_.has_indirect_call, 0
	.section	.AMDGPU.csdata,"",@progbits
; Kernel info:
; codeLenInByte = 0
; TotalNumSgprs: 0
; NumVgprs: 0
; ScratchSize: 0
; MemoryBound: 0
; FloatMode: 240
; IeeeMode: 1
; LDSByteSize: 0 bytes/workgroup (compile time only)
; SGPRBlocks: 0
; VGPRBlocks: 0
; NumSGPRsForWavesPerEU: 1
; NumVGPRsForWavesPerEU: 1
; NamedBarCnt: 0
; Occupancy: 16
; WaveLimiterHint : 0
; COMPUTE_PGM_RSRC2:SCRATCH_EN: 0
; COMPUTE_PGM_RSRC2:USER_SGPR: 2
; COMPUTE_PGM_RSRC2:TRAP_HANDLER: 0
; COMPUTE_PGM_RSRC2:TGID_X_EN: 1
; COMPUTE_PGM_RSRC2:TGID_Y_EN: 0
; COMPUTE_PGM_RSRC2:TGID_Z_EN: 0
; COMPUTE_PGM_RSRC2:TIDIG_COMP_CNT: 0
	.section	.text._ZN7rocprim17ROCPRIM_400000_NS6detail17trampoline_kernelINS0_14default_configENS1_20scan_config_selectorIjEEZZNS1_9scan_implILNS1_25lookback_scan_determinismE0ELb1ELb1ES3_PjS8_jN6hipcub16HIPCUB_304000_NS3SumEjEEDaPvRmT3_T4_T5_mT6_P12ihipStream_tbENKUlT_T0_E_clISt17integral_constantIbLb0EESO_IbLb1EEEEDaSK_SL_EUlSK_E0_NS1_11comp_targetILNS1_3genE4ELNS1_11target_archE910ELNS1_3gpuE8ELNS1_3repE0EEENS1_30default_config_static_selectorELNS0_4arch9wavefront6targetE0EEEvT1_,"axG",@progbits,_ZN7rocprim17ROCPRIM_400000_NS6detail17trampoline_kernelINS0_14default_configENS1_20scan_config_selectorIjEEZZNS1_9scan_implILNS1_25lookback_scan_determinismE0ELb1ELb1ES3_PjS8_jN6hipcub16HIPCUB_304000_NS3SumEjEEDaPvRmT3_T4_T5_mT6_P12ihipStream_tbENKUlT_T0_E_clISt17integral_constantIbLb0EESO_IbLb1EEEEDaSK_SL_EUlSK_E0_NS1_11comp_targetILNS1_3genE4ELNS1_11target_archE910ELNS1_3gpuE8ELNS1_3repE0EEENS1_30default_config_static_selectorELNS0_4arch9wavefront6targetE0EEEvT1_,comdat
	.protected	_ZN7rocprim17ROCPRIM_400000_NS6detail17trampoline_kernelINS0_14default_configENS1_20scan_config_selectorIjEEZZNS1_9scan_implILNS1_25lookback_scan_determinismE0ELb1ELb1ES3_PjS8_jN6hipcub16HIPCUB_304000_NS3SumEjEEDaPvRmT3_T4_T5_mT6_P12ihipStream_tbENKUlT_T0_E_clISt17integral_constantIbLb0EESO_IbLb1EEEEDaSK_SL_EUlSK_E0_NS1_11comp_targetILNS1_3genE4ELNS1_11target_archE910ELNS1_3gpuE8ELNS1_3repE0EEENS1_30default_config_static_selectorELNS0_4arch9wavefront6targetE0EEEvT1_ ; -- Begin function _ZN7rocprim17ROCPRIM_400000_NS6detail17trampoline_kernelINS0_14default_configENS1_20scan_config_selectorIjEEZZNS1_9scan_implILNS1_25lookback_scan_determinismE0ELb1ELb1ES3_PjS8_jN6hipcub16HIPCUB_304000_NS3SumEjEEDaPvRmT3_T4_T5_mT6_P12ihipStream_tbENKUlT_T0_E_clISt17integral_constantIbLb0EESO_IbLb1EEEEDaSK_SL_EUlSK_E0_NS1_11comp_targetILNS1_3genE4ELNS1_11target_archE910ELNS1_3gpuE8ELNS1_3repE0EEENS1_30default_config_static_selectorELNS0_4arch9wavefront6targetE0EEEvT1_
	.globl	_ZN7rocprim17ROCPRIM_400000_NS6detail17trampoline_kernelINS0_14default_configENS1_20scan_config_selectorIjEEZZNS1_9scan_implILNS1_25lookback_scan_determinismE0ELb1ELb1ES3_PjS8_jN6hipcub16HIPCUB_304000_NS3SumEjEEDaPvRmT3_T4_T5_mT6_P12ihipStream_tbENKUlT_T0_E_clISt17integral_constantIbLb0EESO_IbLb1EEEEDaSK_SL_EUlSK_E0_NS1_11comp_targetILNS1_3genE4ELNS1_11target_archE910ELNS1_3gpuE8ELNS1_3repE0EEENS1_30default_config_static_selectorELNS0_4arch9wavefront6targetE0EEEvT1_
	.p2align	8
	.type	_ZN7rocprim17ROCPRIM_400000_NS6detail17trampoline_kernelINS0_14default_configENS1_20scan_config_selectorIjEEZZNS1_9scan_implILNS1_25lookback_scan_determinismE0ELb1ELb1ES3_PjS8_jN6hipcub16HIPCUB_304000_NS3SumEjEEDaPvRmT3_T4_T5_mT6_P12ihipStream_tbENKUlT_T0_E_clISt17integral_constantIbLb0EESO_IbLb1EEEEDaSK_SL_EUlSK_E0_NS1_11comp_targetILNS1_3genE4ELNS1_11target_archE910ELNS1_3gpuE8ELNS1_3repE0EEENS1_30default_config_static_selectorELNS0_4arch9wavefront6targetE0EEEvT1_,@function
_ZN7rocprim17ROCPRIM_400000_NS6detail17trampoline_kernelINS0_14default_configENS1_20scan_config_selectorIjEEZZNS1_9scan_implILNS1_25lookback_scan_determinismE0ELb1ELb1ES3_PjS8_jN6hipcub16HIPCUB_304000_NS3SumEjEEDaPvRmT3_T4_T5_mT6_P12ihipStream_tbENKUlT_T0_E_clISt17integral_constantIbLb0EESO_IbLb1EEEEDaSK_SL_EUlSK_E0_NS1_11comp_targetILNS1_3genE4ELNS1_11target_archE910ELNS1_3gpuE8ELNS1_3repE0EEENS1_30default_config_static_selectorELNS0_4arch9wavefront6targetE0EEEvT1_: ; @_ZN7rocprim17ROCPRIM_400000_NS6detail17trampoline_kernelINS0_14default_configENS1_20scan_config_selectorIjEEZZNS1_9scan_implILNS1_25lookback_scan_determinismE0ELb1ELb1ES3_PjS8_jN6hipcub16HIPCUB_304000_NS3SumEjEEDaPvRmT3_T4_T5_mT6_P12ihipStream_tbENKUlT_T0_E_clISt17integral_constantIbLb0EESO_IbLb1EEEEDaSK_SL_EUlSK_E0_NS1_11comp_targetILNS1_3genE4ELNS1_11target_archE910ELNS1_3gpuE8ELNS1_3repE0EEENS1_30default_config_static_selectorELNS0_4arch9wavefront6targetE0EEEvT1_
; %bb.0:
	.section	.rodata,"a",@progbits
	.p2align	6, 0x0
	.amdhsa_kernel _ZN7rocprim17ROCPRIM_400000_NS6detail17trampoline_kernelINS0_14default_configENS1_20scan_config_selectorIjEEZZNS1_9scan_implILNS1_25lookback_scan_determinismE0ELb1ELb1ES3_PjS8_jN6hipcub16HIPCUB_304000_NS3SumEjEEDaPvRmT3_T4_T5_mT6_P12ihipStream_tbENKUlT_T0_E_clISt17integral_constantIbLb0EESO_IbLb1EEEEDaSK_SL_EUlSK_E0_NS1_11comp_targetILNS1_3genE4ELNS1_11target_archE910ELNS1_3gpuE8ELNS1_3repE0EEENS1_30default_config_static_selectorELNS0_4arch9wavefront6targetE0EEEvT1_
		.amdhsa_group_segment_fixed_size 0
		.amdhsa_private_segment_fixed_size 0
		.amdhsa_kernarg_size 32
		.amdhsa_user_sgpr_count 2
		.amdhsa_user_sgpr_dispatch_ptr 0
		.amdhsa_user_sgpr_queue_ptr 0
		.amdhsa_user_sgpr_kernarg_segment_ptr 1
		.amdhsa_user_sgpr_dispatch_id 0
		.amdhsa_user_sgpr_kernarg_preload_length 0
		.amdhsa_user_sgpr_kernarg_preload_offset 0
		.amdhsa_user_sgpr_private_segment_size 0
		.amdhsa_wavefront_size32 1
		.amdhsa_uses_dynamic_stack 0
		.amdhsa_enable_private_segment 0
		.amdhsa_system_sgpr_workgroup_id_x 1
		.amdhsa_system_sgpr_workgroup_id_y 0
		.amdhsa_system_sgpr_workgroup_id_z 0
		.amdhsa_system_sgpr_workgroup_info 0
		.amdhsa_system_vgpr_workitem_id 0
		.amdhsa_next_free_vgpr 1
		.amdhsa_next_free_sgpr 1
		.amdhsa_named_barrier_count 0
		.amdhsa_reserve_vcc 0
		.amdhsa_float_round_mode_32 0
		.amdhsa_float_round_mode_16_64 0
		.amdhsa_float_denorm_mode_32 3
		.amdhsa_float_denorm_mode_16_64 3
		.amdhsa_fp16_overflow 0
		.amdhsa_memory_ordered 1
		.amdhsa_forward_progress 1
		.amdhsa_inst_pref_size 0
		.amdhsa_round_robin_scheduling 0
		.amdhsa_exception_fp_ieee_invalid_op 0
		.amdhsa_exception_fp_denorm_src 0
		.amdhsa_exception_fp_ieee_div_zero 0
		.amdhsa_exception_fp_ieee_overflow 0
		.amdhsa_exception_fp_ieee_underflow 0
		.amdhsa_exception_fp_ieee_inexact 0
		.amdhsa_exception_int_div_zero 0
	.end_amdhsa_kernel
	.section	.text._ZN7rocprim17ROCPRIM_400000_NS6detail17trampoline_kernelINS0_14default_configENS1_20scan_config_selectorIjEEZZNS1_9scan_implILNS1_25lookback_scan_determinismE0ELb1ELb1ES3_PjS8_jN6hipcub16HIPCUB_304000_NS3SumEjEEDaPvRmT3_T4_T5_mT6_P12ihipStream_tbENKUlT_T0_E_clISt17integral_constantIbLb0EESO_IbLb1EEEEDaSK_SL_EUlSK_E0_NS1_11comp_targetILNS1_3genE4ELNS1_11target_archE910ELNS1_3gpuE8ELNS1_3repE0EEENS1_30default_config_static_selectorELNS0_4arch9wavefront6targetE0EEEvT1_,"axG",@progbits,_ZN7rocprim17ROCPRIM_400000_NS6detail17trampoline_kernelINS0_14default_configENS1_20scan_config_selectorIjEEZZNS1_9scan_implILNS1_25lookback_scan_determinismE0ELb1ELb1ES3_PjS8_jN6hipcub16HIPCUB_304000_NS3SumEjEEDaPvRmT3_T4_T5_mT6_P12ihipStream_tbENKUlT_T0_E_clISt17integral_constantIbLb0EESO_IbLb1EEEEDaSK_SL_EUlSK_E0_NS1_11comp_targetILNS1_3genE4ELNS1_11target_archE910ELNS1_3gpuE8ELNS1_3repE0EEENS1_30default_config_static_selectorELNS0_4arch9wavefront6targetE0EEEvT1_,comdat
.Lfunc_end78:
	.size	_ZN7rocprim17ROCPRIM_400000_NS6detail17trampoline_kernelINS0_14default_configENS1_20scan_config_selectorIjEEZZNS1_9scan_implILNS1_25lookback_scan_determinismE0ELb1ELb1ES3_PjS8_jN6hipcub16HIPCUB_304000_NS3SumEjEEDaPvRmT3_T4_T5_mT6_P12ihipStream_tbENKUlT_T0_E_clISt17integral_constantIbLb0EESO_IbLb1EEEEDaSK_SL_EUlSK_E0_NS1_11comp_targetILNS1_3genE4ELNS1_11target_archE910ELNS1_3gpuE8ELNS1_3repE0EEENS1_30default_config_static_selectorELNS0_4arch9wavefront6targetE0EEEvT1_, .Lfunc_end78-_ZN7rocprim17ROCPRIM_400000_NS6detail17trampoline_kernelINS0_14default_configENS1_20scan_config_selectorIjEEZZNS1_9scan_implILNS1_25lookback_scan_determinismE0ELb1ELb1ES3_PjS8_jN6hipcub16HIPCUB_304000_NS3SumEjEEDaPvRmT3_T4_T5_mT6_P12ihipStream_tbENKUlT_T0_E_clISt17integral_constantIbLb0EESO_IbLb1EEEEDaSK_SL_EUlSK_E0_NS1_11comp_targetILNS1_3genE4ELNS1_11target_archE910ELNS1_3gpuE8ELNS1_3repE0EEENS1_30default_config_static_selectorELNS0_4arch9wavefront6targetE0EEEvT1_
                                        ; -- End function
	.set _ZN7rocprim17ROCPRIM_400000_NS6detail17trampoline_kernelINS0_14default_configENS1_20scan_config_selectorIjEEZZNS1_9scan_implILNS1_25lookback_scan_determinismE0ELb1ELb1ES3_PjS8_jN6hipcub16HIPCUB_304000_NS3SumEjEEDaPvRmT3_T4_T5_mT6_P12ihipStream_tbENKUlT_T0_E_clISt17integral_constantIbLb0EESO_IbLb1EEEEDaSK_SL_EUlSK_E0_NS1_11comp_targetILNS1_3genE4ELNS1_11target_archE910ELNS1_3gpuE8ELNS1_3repE0EEENS1_30default_config_static_selectorELNS0_4arch9wavefront6targetE0EEEvT1_.num_vgpr, 0
	.set _ZN7rocprim17ROCPRIM_400000_NS6detail17trampoline_kernelINS0_14default_configENS1_20scan_config_selectorIjEEZZNS1_9scan_implILNS1_25lookback_scan_determinismE0ELb1ELb1ES3_PjS8_jN6hipcub16HIPCUB_304000_NS3SumEjEEDaPvRmT3_T4_T5_mT6_P12ihipStream_tbENKUlT_T0_E_clISt17integral_constantIbLb0EESO_IbLb1EEEEDaSK_SL_EUlSK_E0_NS1_11comp_targetILNS1_3genE4ELNS1_11target_archE910ELNS1_3gpuE8ELNS1_3repE0EEENS1_30default_config_static_selectorELNS0_4arch9wavefront6targetE0EEEvT1_.num_agpr, 0
	.set _ZN7rocprim17ROCPRIM_400000_NS6detail17trampoline_kernelINS0_14default_configENS1_20scan_config_selectorIjEEZZNS1_9scan_implILNS1_25lookback_scan_determinismE0ELb1ELb1ES3_PjS8_jN6hipcub16HIPCUB_304000_NS3SumEjEEDaPvRmT3_T4_T5_mT6_P12ihipStream_tbENKUlT_T0_E_clISt17integral_constantIbLb0EESO_IbLb1EEEEDaSK_SL_EUlSK_E0_NS1_11comp_targetILNS1_3genE4ELNS1_11target_archE910ELNS1_3gpuE8ELNS1_3repE0EEENS1_30default_config_static_selectorELNS0_4arch9wavefront6targetE0EEEvT1_.numbered_sgpr, 0
	.set _ZN7rocprim17ROCPRIM_400000_NS6detail17trampoline_kernelINS0_14default_configENS1_20scan_config_selectorIjEEZZNS1_9scan_implILNS1_25lookback_scan_determinismE0ELb1ELb1ES3_PjS8_jN6hipcub16HIPCUB_304000_NS3SumEjEEDaPvRmT3_T4_T5_mT6_P12ihipStream_tbENKUlT_T0_E_clISt17integral_constantIbLb0EESO_IbLb1EEEEDaSK_SL_EUlSK_E0_NS1_11comp_targetILNS1_3genE4ELNS1_11target_archE910ELNS1_3gpuE8ELNS1_3repE0EEENS1_30default_config_static_selectorELNS0_4arch9wavefront6targetE0EEEvT1_.num_named_barrier, 0
	.set _ZN7rocprim17ROCPRIM_400000_NS6detail17trampoline_kernelINS0_14default_configENS1_20scan_config_selectorIjEEZZNS1_9scan_implILNS1_25lookback_scan_determinismE0ELb1ELb1ES3_PjS8_jN6hipcub16HIPCUB_304000_NS3SumEjEEDaPvRmT3_T4_T5_mT6_P12ihipStream_tbENKUlT_T0_E_clISt17integral_constantIbLb0EESO_IbLb1EEEEDaSK_SL_EUlSK_E0_NS1_11comp_targetILNS1_3genE4ELNS1_11target_archE910ELNS1_3gpuE8ELNS1_3repE0EEENS1_30default_config_static_selectorELNS0_4arch9wavefront6targetE0EEEvT1_.private_seg_size, 0
	.set _ZN7rocprim17ROCPRIM_400000_NS6detail17trampoline_kernelINS0_14default_configENS1_20scan_config_selectorIjEEZZNS1_9scan_implILNS1_25lookback_scan_determinismE0ELb1ELb1ES3_PjS8_jN6hipcub16HIPCUB_304000_NS3SumEjEEDaPvRmT3_T4_T5_mT6_P12ihipStream_tbENKUlT_T0_E_clISt17integral_constantIbLb0EESO_IbLb1EEEEDaSK_SL_EUlSK_E0_NS1_11comp_targetILNS1_3genE4ELNS1_11target_archE910ELNS1_3gpuE8ELNS1_3repE0EEENS1_30default_config_static_selectorELNS0_4arch9wavefront6targetE0EEEvT1_.uses_vcc, 0
	.set _ZN7rocprim17ROCPRIM_400000_NS6detail17trampoline_kernelINS0_14default_configENS1_20scan_config_selectorIjEEZZNS1_9scan_implILNS1_25lookback_scan_determinismE0ELb1ELb1ES3_PjS8_jN6hipcub16HIPCUB_304000_NS3SumEjEEDaPvRmT3_T4_T5_mT6_P12ihipStream_tbENKUlT_T0_E_clISt17integral_constantIbLb0EESO_IbLb1EEEEDaSK_SL_EUlSK_E0_NS1_11comp_targetILNS1_3genE4ELNS1_11target_archE910ELNS1_3gpuE8ELNS1_3repE0EEENS1_30default_config_static_selectorELNS0_4arch9wavefront6targetE0EEEvT1_.uses_flat_scratch, 0
	.set _ZN7rocprim17ROCPRIM_400000_NS6detail17trampoline_kernelINS0_14default_configENS1_20scan_config_selectorIjEEZZNS1_9scan_implILNS1_25lookback_scan_determinismE0ELb1ELb1ES3_PjS8_jN6hipcub16HIPCUB_304000_NS3SumEjEEDaPvRmT3_T4_T5_mT6_P12ihipStream_tbENKUlT_T0_E_clISt17integral_constantIbLb0EESO_IbLb1EEEEDaSK_SL_EUlSK_E0_NS1_11comp_targetILNS1_3genE4ELNS1_11target_archE910ELNS1_3gpuE8ELNS1_3repE0EEENS1_30default_config_static_selectorELNS0_4arch9wavefront6targetE0EEEvT1_.has_dyn_sized_stack, 0
	.set _ZN7rocprim17ROCPRIM_400000_NS6detail17trampoline_kernelINS0_14default_configENS1_20scan_config_selectorIjEEZZNS1_9scan_implILNS1_25lookback_scan_determinismE0ELb1ELb1ES3_PjS8_jN6hipcub16HIPCUB_304000_NS3SumEjEEDaPvRmT3_T4_T5_mT6_P12ihipStream_tbENKUlT_T0_E_clISt17integral_constantIbLb0EESO_IbLb1EEEEDaSK_SL_EUlSK_E0_NS1_11comp_targetILNS1_3genE4ELNS1_11target_archE910ELNS1_3gpuE8ELNS1_3repE0EEENS1_30default_config_static_selectorELNS0_4arch9wavefront6targetE0EEEvT1_.has_recursion, 0
	.set _ZN7rocprim17ROCPRIM_400000_NS6detail17trampoline_kernelINS0_14default_configENS1_20scan_config_selectorIjEEZZNS1_9scan_implILNS1_25lookback_scan_determinismE0ELb1ELb1ES3_PjS8_jN6hipcub16HIPCUB_304000_NS3SumEjEEDaPvRmT3_T4_T5_mT6_P12ihipStream_tbENKUlT_T0_E_clISt17integral_constantIbLb0EESO_IbLb1EEEEDaSK_SL_EUlSK_E0_NS1_11comp_targetILNS1_3genE4ELNS1_11target_archE910ELNS1_3gpuE8ELNS1_3repE0EEENS1_30default_config_static_selectorELNS0_4arch9wavefront6targetE0EEEvT1_.has_indirect_call, 0
	.section	.AMDGPU.csdata,"",@progbits
; Kernel info:
; codeLenInByte = 0
; TotalNumSgprs: 0
; NumVgprs: 0
; ScratchSize: 0
; MemoryBound: 0
; FloatMode: 240
; IeeeMode: 1
; LDSByteSize: 0 bytes/workgroup (compile time only)
; SGPRBlocks: 0
; VGPRBlocks: 0
; NumSGPRsForWavesPerEU: 1
; NumVGPRsForWavesPerEU: 1
; NamedBarCnt: 0
; Occupancy: 16
; WaveLimiterHint : 0
; COMPUTE_PGM_RSRC2:SCRATCH_EN: 0
; COMPUTE_PGM_RSRC2:USER_SGPR: 2
; COMPUTE_PGM_RSRC2:TRAP_HANDLER: 0
; COMPUTE_PGM_RSRC2:TGID_X_EN: 1
; COMPUTE_PGM_RSRC2:TGID_Y_EN: 0
; COMPUTE_PGM_RSRC2:TGID_Z_EN: 0
; COMPUTE_PGM_RSRC2:TIDIG_COMP_CNT: 0
	.section	.text._ZN7rocprim17ROCPRIM_400000_NS6detail17trampoline_kernelINS0_14default_configENS1_20scan_config_selectorIjEEZZNS1_9scan_implILNS1_25lookback_scan_determinismE0ELb1ELb1ES3_PjS8_jN6hipcub16HIPCUB_304000_NS3SumEjEEDaPvRmT3_T4_T5_mT6_P12ihipStream_tbENKUlT_T0_E_clISt17integral_constantIbLb0EESO_IbLb1EEEEDaSK_SL_EUlSK_E0_NS1_11comp_targetILNS1_3genE3ELNS1_11target_archE908ELNS1_3gpuE7ELNS1_3repE0EEENS1_30default_config_static_selectorELNS0_4arch9wavefront6targetE0EEEvT1_,"axG",@progbits,_ZN7rocprim17ROCPRIM_400000_NS6detail17trampoline_kernelINS0_14default_configENS1_20scan_config_selectorIjEEZZNS1_9scan_implILNS1_25lookback_scan_determinismE0ELb1ELb1ES3_PjS8_jN6hipcub16HIPCUB_304000_NS3SumEjEEDaPvRmT3_T4_T5_mT6_P12ihipStream_tbENKUlT_T0_E_clISt17integral_constantIbLb0EESO_IbLb1EEEEDaSK_SL_EUlSK_E0_NS1_11comp_targetILNS1_3genE3ELNS1_11target_archE908ELNS1_3gpuE7ELNS1_3repE0EEENS1_30default_config_static_selectorELNS0_4arch9wavefront6targetE0EEEvT1_,comdat
	.protected	_ZN7rocprim17ROCPRIM_400000_NS6detail17trampoline_kernelINS0_14default_configENS1_20scan_config_selectorIjEEZZNS1_9scan_implILNS1_25lookback_scan_determinismE0ELb1ELb1ES3_PjS8_jN6hipcub16HIPCUB_304000_NS3SumEjEEDaPvRmT3_T4_T5_mT6_P12ihipStream_tbENKUlT_T0_E_clISt17integral_constantIbLb0EESO_IbLb1EEEEDaSK_SL_EUlSK_E0_NS1_11comp_targetILNS1_3genE3ELNS1_11target_archE908ELNS1_3gpuE7ELNS1_3repE0EEENS1_30default_config_static_selectorELNS0_4arch9wavefront6targetE0EEEvT1_ ; -- Begin function _ZN7rocprim17ROCPRIM_400000_NS6detail17trampoline_kernelINS0_14default_configENS1_20scan_config_selectorIjEEZZNS1_9scan_implILNS1_25lookback_scan_determinismE0ELb1ELb1ES3_PjS8_jN6hipcub16HIPCUB_304000_NS3SumEjEEDaPvRmT3_T4_T5_mT6_P12ihipStream_tbENKUlT_T0_E_clISt17integral_constantIbLb0EESO_IbLb1EEEEDaSK_SL_EUlSK_E0_NS1_11comp_targetILNS1_3genE3ELNS1_11target_archE908ELNS1_3gpuE7ELNS1_3repE0EEENS1_30default_config_static_selectorELNS0_4arch9wavefront6targetE0EEEvT1_
	.globl	_ZN7rocprim17ROCPRIM_400000_NS6detail17trampoline_kernelINS0_14default_configENS1_20scan_config_selectorIjEEZZNS1_9scan_implILNS1_25lookback_scan_determinismE0ELb1ELb1ES3_PjS8_jN6hipcub16HIPCUB_304000_NS3SumEjEEDaPvRmT3_T4_T5_mT6_P12ihipStream_tbENKUlT_T0_E_clISt17integral_constantIbLb0EESO_IbLb1EEEEDaSK_SL_EUlSK_E0_NS1_11comp_targetILNS1_3genE3ELNS1_11target_archE908ELNS1_3gpuE7ELNS1_3repE0EEENS1_30default_config_static_selectorELNS0_4arch9wavefront6targetE0EEEvT1_
	.p2align	8
	.type	_ZN7rocprim17ROCPRIM_400000_NS6detail17trampoline_kernelINS0_14default_configENS1_20scan_config_selectorIjEEZZNS1_9scan_implILNS1_25lookback_scan_determinismE0ELb1ELb1ES3_PjS8_jN6hipcub16HIPCUB_304000_NS3SumEjEEDaPvRmT3_T4_T5_mT6_P12ihipStream_tbENKUlT_T0_E_clISt17integral_constantIbLb0EESO_IbLb1EEEEDaSK_SL_EUlSK_E0_NS1_11comp_targetILNS1_3genE3ELNS1_11target_archE908ELNS1_3gpuE7ELNS1_3repE0EEENS1_30default_config_static_selectorELNS0_4arch9wavefront6targetE0EEEvT1_,@function
_ZN7rocprim17ROCPRIM_400000_NS6detail17trampoline_kernelINS0_14default_configENS1_20scan_config_selectorIjEEZZNS1_9scan_implILNS1_25lookback_scan_determinismE0ELb1ELb1ES3_PjS8_jN6hipcub16HIPCUB_304000_NS3SumEjEEDaPvRmT3_T4_T5_mT6_P12ihipStream_tbENKUlT_T0_E_clISt17integral_constantIbLb0EESO_IbLb1EEEEDaSK_SL_EUlSK_E0_NS1_11comp_targetILNS1_3genE3ELNS1_11target_archE908ELNS1_3gpuE7ELNS1_3repE0EEENS1_30default_config_static_selectorELNS0_4arch9wavefront6targetE0EEEvT1_: ; @_ZN7rocprim17ROCPRIM_400000_NS6detail17trampoline_kernelINS0_14default_configENS1_20scan_config_selectorIjEEZZNS1_9scan_implILNS1_25lookback_scan_determinismE0ELb1ELb1ES3_PjS8_jN6hipcub16HIPCUB_304000_NS3SumEjEEDaPvRmT3_T4_T5_mT6_P12ihipStream_tbENKUlT_T0_E_clISt17integral_constantIbLb0EESO_IbLb1EEEEDaSK_SL_EUlSK_E0_NS1_11comp_targetILNS1_3genE3ELNS1_11target_archE908ELNS1_3gpuE7ELNS1_3repE0EEENS1_30default_config_static_selectorELNS0_4arch9wavefront6targetE0EEEvT1_
; %bb.0:
	.section	.rodata,"a",@progbits
	.p2align	6, 0x0
	.amdhsa_kernel _ZN7rocprim17ROCPRIM_400000_NS6detail17trampoline_kernelINS0_14default_configENS1_20scan_config_selectorIjEEZZNS1_9scan_implILNS1_25lookback_scan_determinismE0ELb1ELb1ES3_PjS8_jN6hipcub16HIPCUB_304000_NS3SumEjEEDaPvRmT3_T4_T5_mT6_P12ihipStream_tbENKUlT_T0_E_clISt17integral_constantIbLb0EESO_IbLb1EEEEDaSK_SL_EUlSK_E0_NS1_11comp_targetILNS1_3genE3ELNS1_11target_archE908ELNS1_3gpuE7ELNS1_3repE0EEENS1_30default_config_static_selectorELNS0_4arch9wavefront6targetE0EEEvT1_
		.amdhsa_group_segment_fixed_size 0
		.amdhsa_private_segment_fixed_size 0
		.amdhsa_kernarg_size 32
		.amdhsa_user_sgpr_count 2
		.amdhsa_user_sgpr_dispatch_ptr 0
		.amdhsa_user_sgpr_queue_ptr 0
		.amdhsa_user_sgpr_kernarg_segment_ptr 1
		.amdhsa_user_sgpr_dispatch_id 0
		.amdhsa_user_sgpr_kernarg_preload_length 0
		.amdhsa_user_sgpr_kernarg_preload_offset 0
		.amdhsa_user_sgpr_private_segment_size 0
		.amdhsa_wavefront_size32 1
		.amdhsa_uses_dynamic_stack 0
		.amdhsa_enable_private_segment 0
		.amdhsa_system_sgpr_workgroup_id_x 1
		.amdhsa_system_sgpr_workgroup_id_y 0
		.amdhsa_system_sgpr_workgroup_id_z 0
		.amdhsa_system_sgpr_workgroup_info 0
		.amdhsa_system_vgpr_workitem_id 0
		.amdhsa_next_free_vgpr 1
		.amdhsa_next_free_sgpr 1
		.amdhsa_named_barrier_count 0
		.amdhsa_reserve_vcc 0
		.amdhsa_float_round_mode_32 0
		.amdhsa_float_round_mode_16_64 0
		.amdhsa_float_denorm_mode_32 3
		.amdhsa_float_denorm_mode_16_64 3
		.amdhsa_fp16_overflow 0
		.amdhsa_memory_ordered 1
		.amdhsa_forward_progress 1
		.amdhsa_inst_pref_size 0
		.amdhsa_round_robin_scheduling 0
		.amdhsa_exception_fp_ieee_invalid_op 0
		.amdhsa_exception_fp_denorm_src 0
		.amdhsa_exception_fp_ieee_div_zero 0
		.amdhsa_exception_fp_ieee_overflow 0
		.amdhsa_exception_fp_ieee_underflow 0
		.amdhsa_exception_fp_ieee_inexact 0
		.amdhsa_exception_int_div_zero 0
	.end_amdhsa_kernel
	.section	.text._ZN7rocprim17ROCPRIM_400000_NS6detail17trampoline_kernelINS0_14default_configENS1_20scan_config_selectorIjEEZZNS1_9scan_implILNS1_25lookback_scan_determinismE0ELb1ELb1ES3_PjS8_jN6hipcub16HIPCUB_304000_NS3SumEjEEDaPvRmT3_T4_T5_mT6_P12ihipStream_tbENKUlT_T0_E_clISt17integral_constantIbLb0EESO_IbLb1EEEEDaSK_SL_EUlSK_E0_NS1_11comp_targetILNS1_3genE3ELNS1_11target_archE908ELNS1_3gpuE7ELNS1_3repE0EEENS1_30default_config_static_selectorELNS0_4arch9wavefront6targetE0EEEvT1_,"axG",@progbits,_ZN7rocprim17ROCPRIM_400000_NS6detail17trampoline_kernelINS0_14default_configENS1_20scan_config_selectorIjEEZZNS1_9scan_implILNS1_25lookback_scan_determinismE0ELb1ELb1ES3_PjS8_jN6hipcub16HIPCUB_304000_NS3SumEjEEDaPvRmT3_T4_T5_mT6_P12ihipStream_tbENKUlT_T0_E_clISt17integral_constantIbLb0EESO_IbLb1EEEEDaSK_SL_EUlSK_E0_NS1_11comp_targetILNS1_3genE3ELNS1_11target_archE908ELNS1_3gpuE7ELNS1_3repE0EEENS1_30default_config_static_selectorELNS0_4arch9wavefront6targetE0EEEvT1_,comdat
.Lfunc_end79:
	.size	_ZN7rocprim17ROCPRIM_400000_NS6detail17trampoline_kernelINS0_14default_configENS1_20scan_config_selectorIjEEZZNS1_9scan_implILNS1_25lookback_scan_determinismE0ELb1ELb1ES3_PjS8_jN6hipcub16HIPCUB_304000_NS3SumEjEEDaPvRmT3_T4_T5_mT6_P12ihipStream_tbENKUlT_T0_E_clISt17integral_constantIbLb0EESO_IbLb1EEEEDaSK_SL_EUlSK_E0_NS1_11comp_targetILNS1_3genE3ELNS1_11target_archE908ELNS1_3gpuE7ELNS1_3repE0EEENS1_30default_config_static_selectorELNS0_4arch9wavefront6targetE0EEEvT1_, .Lfunc_end79-_ZN7rocprim17ROCPRIM_400000_NS6detail17trampoline_kernelINS0_14default_configENS1_20scan_config_selectorIjEEZZNS1_9scan_implILNS1_25lookback_scan_determinismE0ELb1ELb1ES3_PjS8_jN6hipcub16HIPCUB_304000_NS3SumEjEEDaPvRmT3_T4_T5_mT6_P12ihipStream_tbENKUlT_T0_E_clISt17integral_constantIbLb0EESO_IbLb1EEEEDaSK_SL_EUlSK_E0_NS1_11comp_targetILNS1_3genE3ELNS1_11target_archE908ELNS1_3gpuE7ELNS1_3repE0EEENS1_30default_config_static_selectorELNS0_4arch9wavefront6targetE0EEEvT1_
                                        ; -- End function
	.set _ZN7rocprim17ROCPRIM_400000_NS6detail17trampoline_kernelINS0_14default_configENS1_20scan_config_selectorIjEEZZNS1_9scan_implILNS1_25lookback_scan_determinismE0ELb1ELb1ES3_PjS8_jN6hipcub16HIPCUB_304000_NS3SumEjEEDaPvRmT3_T4_T5_mT6_P12ihipStream_tbENKUlT_T0_E_clISt17integral_constantIbLb0EESO_IbLb1EEEEDaSK_SL_EUlSK_E0_NS1_11comp_targetILNS1_3genE3ELNS1_11target_archE908ELNS1_3gpuE7ELNS1_3repE0EEENS1_30default_config_static_selectorELNS0_4arch9wavefront6targetE0EEEvT1_.num_vgpr, 0
	.set _ZN7rocprim17ROCPRIM_400000_NS6detail17trampoline_kernelINS0_14default_configENS1_20scan_config_selectorIjEEZZNS1_9scan_implILNS1_25lookback_scan_determinismE0ELb1ELb1ES3_PjS8_jN6hipcub16HIPCUB_304000_NS3SumEjEEDaPvRmT3_T4_T5_mT6_P12ihipStream_tbENKUlT_T0_E_clISt17integral_constantIbLb0EESO_IbLb1EEEEDaSK_SL_EUlSK_E0_NS1_11comp_targetILNS1_3genE3ELNS1_11target_archE908ELNS1_3gpuE7ELNS1_3repE0EEENS1_30default_config_static_selectorELNS0_4arch9wavefront6targetE0EEEvT1_.num_agpr, 0
	.set _ZN7rocprim17ROCPRIM_400000_NS6detail17trampoline_kernelINS0_14default_configENS1_20scan_config_selectorIjEEZZNS1_9scan_implILNS1_25lookback_scan_determinismE0ELb1ELb1ES3_PjS8_jN6hipcub16HIPCUB_304000_NS3SumEjEEDaPvRmT3_T4_T5_mT6_P12ihipStream_tbENKUlT_T0_E_clISt17integral_constantIbLb0EESO_IbLb1EEEEDaSK_SL_EUlSK_E0_NS1_11comp_targetILNS1_3genE3ELNS1_11target_archE908ELNS1_3gpuE7ELNS1_3repE0EEENS1_30default_config_static_selectorELNS0_4arch9wavefront6targetE0EEEvT1_.numbered_sgpr, 0
	.set _ZN7rocprim17ROCPRIM_400000_NS6detail17trampoline_kernelINS0_14default_configENS1_20scan_config_selectorIjEEZZNS1_9scan_implILNS1_25lookback_scan_determinismE0ELb1ELb1ES3_PjS8_jN6hipcub16HIPCUB_304000_NS3SumEjEEDaPvRmT3_T4_T5_mT6_P12ihipStream_tbENKUlT_T0_E_clISt17integral_constantIbLb0EESO_IbLb1EEEEDaSK_SL_EUlSK_E0_NS1_11comp_targetILNS1_3genE3ELNS1_11target_archE908ELNS1_3gpuE7ELNS1_3repE0EEENS1_30default_config_static_selectorELNS0_4arch9wavefront6targetE0EEEvT1_.num_named_barrier, 0
	.set _ZN7rocprim17ROCPRIM_400000_NS6detail17trampoline_kernelINS0_14default_configENS1_20scan_config_selectorIjEEZZNS1_9scan_implILNS1_25lookback_scan_determinismE0ELb1ELb1ES3_PjS8_jN6hipcub16HIPCUB_304000_NS3SumEjEEDaPvRmT3_T4_T5_mT6_P12ihipStream_tbENKUlT_T0_E_clISt17integral_constantIbLb0EESO_IbLb1EEEEDaSK_SL_EUlSK_E0_NS1_11comp_targetILNS1_3genE3ELNS1_11target_archE908ELNS1_3gpuE7ELNS1_3repE0EEENS1_30default_config_static_selectorELNS0_4arch9wavefront6targetE0EEEvT1_.private_seg_size, 0
	.set _ZN7rocprim17ROCPRIM_400000_NS6detail17trampoline_kernelINS0_14default_configENS1_20scan_config_selectorIjEEZZNS1_9scan_implILNS1_25lookback_scan_determinismE0ELb1ELb1ES3_PjS8_jN6hipcub16HIPCUB_304000_NS3SumEjEEDaPvRmT3_T4_T5_mT6_P12ihipStream_tbENKUlT_T0_E_clISt17integral_constantIbLb0EESO_IbLb1EEEEDaSK_SL_EUlSK_E0_NS1_11comp_targetILNS1_3genE3ELNS1_11target_archE908ELNS1_3gpuE7ELNS1_3repE0EEENS1_30default_config_static_selectorELNS0_4arch9wavefront6targetE0EEEvT1_.uses_vcc, 0
	.set _ZN7rocprim17ROCPRIM_400000_NS6detail17trampoline_kernelINS0_14default_configENS1_20scan_config_selectorIjEEZZNS1_9scan_implILNS1_25lookback_scan_determinismE0ELb1ELb1ES3_PjS8_jN6hipcub16HIPCUB_304000_NS3SumEjEEDaPvRmT3_T4_T5_mT6_P12ihipStream_tbENKUlT_T0_E_clISt17integral_constantIbLb0EESO_IbLb1EEEEDaSK_SL_EUlSK_E0_NS1_11comp_targetILNS1_3genE3ELNS1_11target_archE908ELNS1_3gpuE7ELNS1_3repE0EEENS1_30default_config_static_selectorELNS0_4arch9wavefront6targetE0EEEvT1_.uses_flat_scratch, 0
	.set _ZN7rocprim17ROCPRIM_400000_NS6detail17trampoline_kernelINS0_14default_configENS1_20scan_config_selectorIjEEZZNS1_9scan_implILNS1_25lookback_scan_determinismE0ELb1ELb1ES3_PjS8_jN6hipcub16HIPCUB_304000_NS3SumEjEEDaPvRmT3_T4_T5_mT6_P12ihipStream_tbENKUlT_T0_E_clISt17integral_constantIbLb0EESO_IbLb1EEEEDaSK_SL_EUlSK_E0_NS1_11comp_targetILNS1_3genE3ELNS1_11target_archE908ELNS1_3gpuE7ELNS1_3repE0EEENS1_30default_config_static_selectorELNS0_4arch9wavefront6targetE0EEEvT1_.has_dyn_sized_stack, 0
	.set _ZN7rocprim17ROCPRIM_400000_NS6detail17trampoline_kernelINS0_14default_configENS1_20scan_config_selectorIjEEZZNS1_9scan_implILNS1_25lookback_scan_determinismE0ELb1ELb1ES3_PjS8_jN6hipcub16HIPCUB_304000_NS3SumEjEEDaPvRmT3_T4_T5_mT6_P12ihipStream_tbENKUlT_T0_E_clISt17integral_constantIbLb0EESO_IbLb1EEEEDaSK_SL_EUlSK_E0_NS1_11comp_targetILNS1_3genE3ELNS1_11target_archE908ELNS1_3gpuE7ELNS1_3repE0EEENS1_30default_config_static_selectorELNS0_4arch9wavefront6targetE0EEEvT1_.has_recursion, 0
	.set _ZN7rocprim17ROCPRIM_400000_NS6detail17trampoline_kernelINS0_14default_configENS1_20scan_config_selectorIjEEZZNS1_9scan_implILNS1_25lookback_scan_determinismE0ELb1ELb1ES3_PjS8_jN6hipcub16HIPCUB_304000_NS3SumEjEEDaPvRmT3_T4_T5_mT6_P12ihipStream_tbENKUlT_T0_E_clISt17integral_constantIbLb0EESO_IbLb1EEEEDaSK_SL_EUlSK_E0_NS1_11comp_targetILNS1_3genE3ELNS1_11target_archE908ELNS1_3gpuE7ELNS1_3repE0EEENS1_30default_config_static_selectorELNS0_4arch9wavefront6targetE0EEEvT1_.has_indirect_call, 0
	.section	.AMDGPU.csdata,"",@progbits
; Kernel info:
; codeLenInByte = 0
; TotalNumSgprs: 0
; NumVgprs: 0
; ScratchSize: 0
; MemoryBound: 0
; FloatMode: 240
; IeeeMode: 1
; LDSByteSize: 0 bytes/workgroup (compile time only)
; SGPRBlocks: 0
; VGPRBlocks: 0
; NumSGPRsForWavesPerEU: 1
; NumVGPRsForWavesPerEU: 1
; NamedBarCnt: 0
; Occupancy: 16
; WaveLimiterHint : 0
; COMPUTE_PGM_RSRC2:SCRATCH_EN: 0
; COMPUTE_PGM_RSRC2:USER_SGPR: 2
; COMPUTE_PGM_RSRC2:TRAP_HANDLER: 0
; COMPUTE_PGM_RSRC2:TGID_X_EN: 1
; COMPUTE_PGM_RSRC2:TGID_Y_EN: 0
; COMPUTE_PGM_RSRC2:TGID_Z_EN: 0
; COMPUTE_PGM_RSRC2:TIDIG_COMP_CNT: 0
	.section	.text._ZN7rocprim17ROCPRIM_400000_NS6detail17trampoline_kernelINS0_14default_configENS1_20scan_config_selectorIjEEZZNS1_9scan_implILNS1_25lookback_scan_determinismE0ELb1ELb1ES3_PjS8_jN6hipcub16HIPCUB_304000_NS3SumEjEEDaPvRmT3_T4_T5_mT6_P12ihipStream_tbENKUlT_T0_E_clISt17integral_constantIbLb0EESO_IbLb1EEEEDaSK_SL_EUlSK_E0_NS1_11comp_targetILNS1_3genE2ELNS1_11target_archE906ELNS1_3gpuE6ELNS1_3repE0EEENS1_30default_config_static_selectorELNS0_4arch9wavefront6targetE0EEEvT1_,"axG",@progbits,_ZN7rocprim17ROCPRIM_400000_NS6detail17trampoline_kernelINS0_14default_configENS1_20scan_config_selectorIjEEZZNS1_9scan_implILNS1_25lookback_scan_determinismE0ELb1ELb1ES3_PjS8_jN6hipcub16HIPCUB_304000_NS3SumEjEEDaPvRmT3_T4_T5_mT6_P12ihipStream_tbENKUlT_T0_E_clISt17integral_constantIbLb0EESO_IbLb1EEEEDaSK_SL_EUlSK_E0_NS1_11comp_targetILNS1_3genE2ELNS1_11target_archE906ELNS1_3gpuE6ELNS1_3repE0EEENS1_30default_config_static_selectorELNS0_4arch9wavefront6targetE0EEEvT1_,comdat
	.protected	_ZN7rocprim17ROCPRIM_400000_NS6detail17trampoline_kernelINS0_14default_configENS1_20scan_config_selectorIjEEZZNS1_9scan_implILNS1_25lookback_scan_determinismE0ELb1ELb1ES3_PjS8_jN6hipcub16HIPCUB_304000_NS3SumEjEEDaPvRmT3_T4_T5_mT6_P12ihipStream_tbENKUlT_T0_E_clISt17integral_constantIbLb0EESO_IbLb1EEEEDaSK_SL_EUlSK_E0_NS1_11comp_targetILNS1_3genE2ELNS1_11target_archE906ELNS1_3gpuE6ELNS1_3repE0EEENS1_30default_config_static_selectorELNS0_4arch9wavefront6targetE0EEEvT1_ ; -- Begin function _ZN7rocprim17ROCPRIM_400000_NS6detail17trampoline_kernelINS0_14default_configENS1_20scan_config_selectorIjEEZZNS1_9scan_implILNS1_25lookback_scan_determinismE0ELb1ELb1ES3_PjS8_jN6hipcub16HIPCUB_304000_NS3SumEjEEDaPvRmT3_T4_T5_mT6_P12ihipStream_tbENKUlT_T0_E_clISt17integral_constantIbLb0EESO_IbLb1EEEEDaSK_SL_EUlSK_E0_NS1_11comp_targetILNS1_3genE2ELNS1_11target_archE906ELNS1_3gpuE6ELNS1_3repE0EEENS1_30default_config_static_selectorELNS0_4arch9wavefront6targetE0EEEvT1_
	.globl	_ZN7rocprim17ROCPRIM_400000_NS6detail17trampoline_kernelINS0_14default_configENS1_20scan_config_selectorIjEEZZNS1_9scan_implILNS1_25lookback_scan_determinismE0ELb1ELb1ES3_PjS8_jN6hipcub16HIPCUB_304000_NS3SumEjEEDaPvRmT3_T4_T5_mT6_P12ihipStream_tbENKUlT_T0_E_clISt17integral_constantIbLb0EESO_IbLb1EEEEDaSK_SL_EUlSK_E0_NS1_11comp_targetILNS1_3genE2ELNS1_11target_archE906ELNS1_3gpuE6ELNS1_3repE0EEENS1_30default_config_static_selectorELNS0_4arch9wavefront6targetE0EEEvT1_
	.p2align	8
	.type	_ZN7rocprim17ROCPRIM_400000_NS6detail17trampoline_kernelINS0_14default_configENS1_20scan_config_selectorIjEEZZNS1_9scan_implILNS1_25lookback_scan_determinismE0ELb1ELb1ES3_PjS8_jN6hipcub16HIPCUB_304000_NS3SumEjEEDaPvRmT3_T4_T5_mT6_P12ihipStream_tbENKUlT_T0_E_clISt17integral_constantIbLb0EESO_IbLb1EEEEDaSK_SL_EUlSK_E0_NS1_11comp_targetILNS1_3genE2ELNS1_11target_archE906ELNS1_3gpuE6ELNS1_3repE0EEENS1_30default_config_static_selectorELNS0_4arch9wavefront6targetE0EEEvT1_,@function
_ZN7rocprim17ROCPRIM_400000_NS6detail17trampoline_kernelINS0_14default_configENS1_20scan_config_selectorIjEEZZNS1_9scan_implILNS1_25lookback_scan_determinismE0ELb1ELb1ES3_PjS8_jN6hipcub16HIPCUB_304000_NS3SumEjEEDaPvRmT3_T4_T5_mT6_P12ihipStream_tbENKUlT_T0_E_clISt17integral_constantIbLb0EESO_IbLb1EEEEDaSK_SL_EUlSK_E0_NS1_11comp_targetILNS1_3genE2ELNS1_11target_archE906ELNS1_3gpuE6ELNS1_3repE0EEENS1_30default_config_static_selectorELNS0_4arch9wavefront6targetE0EEEvT1_: ; @_ZN7rocprim17ROCPRIM_400000_NS6detail17trampoline_kernelINS0_14default_configENS1_20scan_config_selectorIjEEZZNS1_9scan_implILNS1_25lookback_scan_determinismE0ELb1ELb1ES3_PjS8_jN6hipcub16HIPCUB_304000_NS3SumEjEEDaPvRmT3_T4_T5_mT6_P12ihipStream_tbENKUlT_T0_E_clISt17integral_constantIbLb0EESO_IbLb1EEEEDaSK_SL_EUlSK_E0_NS1_11comp_targetILNS1_3genE2ELNS1_11target_archE906ELNS1_3gpuE6ELNS1_3repE0EEENS1_30default_config_static_selectorELNS0_4arch9wavefront6targetE0EEEvT1_
; %bb.0:
	.section	.rodata,"a",@progbits
	.p2align	6, 0x0
	.amdhsa_kernel _ZN7rocprim17ROCPRIM_400000_NS6detail17trampoline_kernelINS0_14default_configENS1_20scan_config_selectorIjEEZZNS1_9scan_implILNS1_25lookback_scan_determinismE0ELb1ELb1ES3_PjS8_jN6hipcub16HIPCUB_304000_NS3SumEjEEDaPvRmT3_T4_T5_mT6_P12ihipStream_tbENKUlT_T0_E_clISt17integral_constantIbLb0EESO_IbLb1EEEEDaSK_SL_EUlSK_E0_NS1_11comp_targetILNS1_3genE2ELNS1_11target_archE906ELNS1_3gpuE6ELNS1_3repE0EEENS1_30default_config_static_selectorELNS0_4arch9wavefront6targetE0EEEvT1_
		.amdhsa_group_segment_fixed_size 0
		.amdhsa_private_segment_fixed_size 0
		.amdhsa_kernarg_size 32
		.amdhsa_user_sgpr_count 2
		.amdhsa_user_sgpr_dispatch_ptr 0
		.amdhsa_user_sgpr_queue_ptr 0
		.amdhsa_user_sgpr_kernarg_segment_ptr 1
		.amdhsa_user_sgpr_dispatch_id 0
		.amdhsa_user_sgpr_kernarg_preload_length 0
		.amdhsa_user_sgpr_kernarg_preload_offset 0
		.amdhsa_user_sgpr_private_segment_size 0
		.amdhsa_wavefront_size32 1
		.amdhsa_uses_dynamic_stack 0
		.amdhsa_enable_private_segment 0
		.amdhsa_system_sgpr_workgroup_id_x 1
		.amdhsa_system_sgpr_workgroup_id_y 0
		.amdhsa_system_sgpr_workgroup_id_z 0
		.amdhsa_system_sgpr_workgroup_info 0
		.amdhsa_system_vgpr_workitem_id 0
		.amdhsa_next_free_vgpr 1
		.amdhsa_next_free_sgpr 1
		.amdhsa_named_barrier_count 0
		.amdhsa_reserve_vcc 0
		.amdhsa_float_round_mode_32 0
		.amdhsa_float_round_mode_16_64 0
		.amdhsa_float_denorm_mode_32 3
		.amdhsa_float_denorm_mode_16_64 3
		.amdhsa_fp16_overflow 0
		.amdhsa_memory_ordered 1
		.amdhsa_forward_progress 1
		.amdhsa_inst_pref_size 0
		.amdhsa_round_robin_scheduling 0
		.amdhsa_exception_fp_ieee_invalid_op 0
		.amdhsa_exception_fp_denorm_src 0
		.amdhsa_exception_fp_ieee_div_zero 0
		.amdhsa_exception_fp_ieee_overflow 0
		.amdhsa_exception_fp_ieee_underflow 0
		.amdhsa_exception_fp_ieee_inexact 0
		.amdhsa_exception_int_div_zero 0
	.end_amdhsa_kernel
	.section	.text._ZN7rocprim17ROCPRIM_400000_NS6detail17trampoline_kernelINS0_14default_configENS1_20scan_config_selectorIjEEZZNS1_9scan_implILNS1_25lookback_scan_determinismE0ELb1ELb1ES3_PjS8_jN6hipcub16HIPCUB_304000_NS3SumEjEEDaPvRmT3_T4_T5_mT6_P12ihipStream_tbENKUlT_T0_E_clISt17integral_constantIbLb0EESO_IbLb1EEEEDaSK_SL_EUlSK_E0_NS1_11comp_targetILNS1_3genE2ELNS1_11target_archE906ELNS1_3gpuE6ELNS1_3repE0EEENS1_30default_config_static_selectorELNS0_4arch9wavefront6targetE0EEEvT1_,"axG",@progbits,_ZN7rocprim17ROCPRIM_400000_NS6detail17trampoline_kernelINS0_14default_configENS1_20scan_config_selectorIjEEZZNS1_9scan_implILNS1_25lookback_scan_determinismE0ELb1ELb1ES3_PjS8_jN6hipcub16HIPCUB_304000_NS3SumEjEEDaPvRmT3_T4_T5_mT6_P12ihipStream_tbENKUlT_T0_E_clISt17integral_constantIbLb0EESO_IbLb1EEEEDaSK_SL_EUlSK_E0_NS1_11comp_targetILNS1_3genE2ELNS1_11target_archE906ELNS1_3gpuE6ELNS1_3repE0EEENS1_30default_config_static_selectorELNS0_4arch9wavefront6targetE0EEEvT1_,comdat
.Lfunc_end80:
	.size	_ZN7rocprim17ROCPRIM_400000_NS6detail17trampoline_kernelINS0_14default_configENS1_20scan_config_selectorIjEEZZNS1_9scan_implILNS1_25lookback_scan_determinismE0ELb1ELb1ES3_PjS8_jN6hipcub16HIPCUB_304000_NS3SumEjEEDaPvRmT3_T4_T5_mT6_P12ihipStream_tbENKUlT_T0_E_clISt17integral_constantIbLb0EESO_IbLb1EEEEDaSK_SL_EUlSK_E0_NS1_11comp_targetILNS1_3genE2ELNS1_11target_archE906ELNS1_3gpuE6ELNS1_3repE0EEENS1_30default_config_static_selectorELNS0_4arch9wavefront6targetE0EEEvT1_, .Lfunc_end80-_ZN7rocprim17ROCPRIM_400000_NS6detail17trampoline_kernelINS0_14default_configENS1_20scan_config_selectorIjEEZZNS1_9scan_implILNS1_25lookback_scan_determinismE0ELb1ELb1ES3_PjS8_jN6hipcub16HIPCUB_304000_NS3SumEjEEDaPvRmT3_T4_T5_mT6_P12ihipStream_tbENKUlT_T0_E_clISt17integral_constantIbLb0EESO_IbLb1EEEEDaSK_SL_EUlSK_E0_NS1_11comp_targetILNS1_3genE2ELNS1_11target_archE906ELNS1_3gpuE6ELNS1_3repE0EEENS1_30default_config_static_selectorELNS0_4arch9wavefront6targetE0EEEvT1_
                                        ; -- End function
	.set _ZN7rocprim17ROCPRIM_400000_NS6detail17trampoline_kernelINS0_14default_configENS1_20scan_config_selectorIjEEZZNS1_9scan_implILNS1_25lookback_scan_determinismE0ELb1ELb1ES3_PjS8_jN6hipcub16HIPCUB_304000_NS3SumEjEEDaPvRmT3_T4_T5_mT6_P12ihipStream_tbENKUlT_T0_E_clISt17integral_constantIbLb0EESO_IbLb1EEEEDaSK_SL_EUlSK_E0_NS1_11comp_targetILNS1_3genE2ELNS1_11target_archE906ELNS1_3gpuE6ELNS1_3repE0EEENS1_30default_config_static_selectorELNS0_4arch9wavefront6targetE0EEEvT1_.num_vgpr, 0
	.set _ZN7rocprim17ROCPRIM_400000_NS6detail17trampoline_kernelINS0_14default_configENS1_20scan_config_selectorIjEEZZNS1_9scan_implILNS1_25lookback_scan_determinismE0ELb1ELb1ES3_PjS8_jN6hipcub16HIPCUB_304000_NS3SumEjEEDaPvRmT3_T4_T5_mT6_P12ihipStream_tbENKUlT_T0_E_clISt17integral_constantIbLb0EESO_IbLb1EEEEDaSK_SL_EUlSK_E0_NS1_11comp_targetILNS1_3genE2ELNS1_11target_archE906ELNS1_3gpuE6ELNS1_3repE0EEENS1_30default_config_static_selectorELNS0_4arch9wavefront6targetE0EEEvT1_.num_agpr, 0
	.set _ZN7rocprim17ROCPRIM_400000_NS6detail17trampoline_kernelINS0_14default_configENS1_20scan_config_selectorIjEEZZNS1_9scan_implILNS1_25lookback_scan_determinismE0ELb1ELb1ES3_PjS8_jN6hipcub16HIPCUB_304000_NS3SumEjEEDaPvRmT3_T4_T5_mT6_P12ihipStream_tbENKUlT_T0_E_clISt17integral_constantIbLb0EESO_IbLb1EEEEDaSK_SL_EUlSK_E0_NS1_11comp_targetILNS1_3genE2ELNS1_11target_archE906ELNS1_3gpuE6ELNS1_3repE0EEENS1_30default_config_static_selectorELNS0_4arch9wavefront6targetE0EEEvT1_.numbered_sgpr, 0
	.set _ZN7rocprim17ROCPRIM_400000_NS6detail17trampoline_kernelINS0_14default_configENS1_20scan_config_selectorIjEEZZNS1_9scan_implILNS1_25lookback_scan_determinismE0ELb1ELb1ES3_PjS8_jN6hipcub16HIPCUB_304000_NS3SumEjEEDaPvRmT3_T4_T5_mT6_P12ihipStream_tbENKUlT_T0_E_clISt17integral_constantIbLb0EESO_IbLb1EEEEDaSK_SL_EUlSK_E0_NS1_11comp_targetILNS1_3genE2ELNS1_11target_archE906ELNS1_3gpuE6ELNS1_3repE0EEENS1_30default_config_static_selectorELNS0_4arch9wavefront6targetE0EEEvT1_.num_named_barrier, 0
	.set _ZN7rocprim17ROCPRIM_400000_NS6detail17trampoline_kernelINS0_14default_configENS1_20scan_config_selectorIjEEZZNS1_9scan_implILNS1_25lookback_scan_determinismE0ELb1ELb1ES3_PjS8_jN6hipcub16HIPCUB_304000_NS3SumEjEEDaPvRmT3_T4_T5_mT6_P12ihipStream_tbENKUlT_T0_E_clISt17integral_constantIbLb0EESO_IbLb1EEEEDaSK_SL_EUlSK_E0_NS1_11comp_targetILNS1_3genE2ELNS1_11target_archE906ELNS1_3gpuE6ELNS1_3repE0EEENS1_30default_config_static_selectorELNS0_4arch9wavefront6targetE0EEEvT1_.private_seg_size, 0
	.set _ZN7rocprim17ROCPRIM_400000_NS6detail17trampoline_kernelINS0_14default_configENS1_20scan_config_selectorIjEEZZNS1_9scan_implILNS1_25lookback_scan_determinismE0ELb1ELb1ES3_PjS8_jN6hipcub16HIPCUB_304000_NS3SumEjEEDaPvRmT3_T4_T5_mT6_P12ihipStream_tbENKUlT_T0_E_clISt17integral_constantIbLb0EESO_IbLb1EEEEDaSK_SL_EUlSK_E0_NS1_11comp_targetILNS1_3genE2ELNS1_11target_archE906ELNS1_3gpuE6ELNS1_3repE0EEENS1_30default_config_static_selectorELNS0_4arch9wavefront6targetE0EEEvT1_.uses_vcc, 0
	.set _ZN7rocprim17ROCPRIM_400000_NS6detail17trampoline_kernelINS0_14default_configENS1_20scan_config_selectorIjEEZZNS1_9scan_implILNS1_25lookback_scan_determinismE0ELb1ELb1ES3_PjS8_jN6hipcub16HIPCUB_304000_NS3SumEjEEDaPvRmT3_T4_T5_mT6_P12ihipStream_tbENKUlT_T0_E_clISt17integral_constantIbLb0EESO_IbLb1EEEEDaSK_SL_EUlSK_E0_NS1_11comp_targetILNS1_3genE2ELNS1_11target_archE906ELNS1_3gpuE6ELNS1_3repE0EEENS1_30default_config_static_selectorELNS0_4arch9wavefront6targetE0EEEvT1_.uses_flat_scratch, 0
	.set _ZN7rocprim17ROCPRIM_400000_NS6detail17trampoline_kernelINS0_14default_configENS1_20scan_config_selectorIjEEZZNS1_9scan_implILNS1_25lookback_scan_determinismE0ELb1ELb1ES3_PjS8_jN6hipcub16HIPCUB_304000_NS3SumEjEEDaPvRmT3_T4_T5_mT6_P12ihipStream_tbENKUlT_T0_E_clISt17integral_constantIbLb0EESO_IbLb1EEEEDaSK_SL_EUlSK_E0_NS1_11comp_targetILNS1_3genE2ELNS1_11target_archE906ELNS1_3gpuE6ELNS1_3repE0EEENS1_30default_config_static_selectorELNS0_4arch9wavefront6targetE0EEEvT1_.has_dyn_sized_stack, 0
	.set _ZN7rocprim17ROCPRIM_400000_NS6detail17trampoline_kernelINS0_14default_configENS1_20scan_config_selectorIjEEZZNS1_9scan_implILNS1_25lookback_scan_determinismE0ELb1ELb1ES3_PjS8_jN6hipcub16HIPCUB_304000_NS3SumEjEEDaPvRmT3_T4_T5_mT6_P12ihipStream_tbENKUlT_T0_E_clISt17integral_constantIbLb0EESO_IbLb1EEEEDaSK_SL_EUlSK_E0_NS1_11comp_targetILNS1_3genE2ELNS1_11target_archE906ELNS1_3gpuE6ELNS1_3repE0EEENS1_30default_config_static_selectorELNS0_4arch9wavefront6targetE0EEEvT1_.has_recursion, 0
	.set _ZN7rocprim17ROCPRIM_400000_NS6detail17trampoline_kernelINS0_14default_configENS1_20scan_config_selectorIjEEZZNS1_9scan_implILNS1_25lookback_scan_determinismE0ELb1ELb1ES3_PjS8_jN6hipcub16HIPCUB_304000_NS3SumEjEEDaPvRmT3_T4_T5_mT6_P12ihipStream_tbENKUlT_T0_E_clISt17integral_constantIbLb0EESO_IbLb1EEEEDaSK_SL_EUlSK_E0_NS1_11comp_targetILNS1_3genE2ELNS1_11target_archE906ELNS1_3gpuE6ELNS1_3repE0EEENS1_30default_config_static_selectorELNS0_4arch9wavefront6targetE0EEEvT1_.has_indirect_call, 0
	.section	.AMDGPU.csdata,"",@progbits
; Kernel info:
; codeLenInByte = 0
; TotalNumSgprs: 0
; NumVgprs: 0
; ScratchSize: 0
; MemoryBound: 0
; FloatMode: 240
; IeeeMode: 1
; LDSByteSize: 0 bytes/workgroup (compile time only)
; SGPRBlocks: 0
; VGPRBlocks: 0
; NumSGPRsForWavesPerEU: 1
; NumVGPRsForWavesPerEU: 1
; NamedBarCnt: 0
; Occupancy: 16
; WaveLimiterHint : 0
; COMPUTE_PGM_RSRC2:SCRATCH_EN: 0
; COMPUTE_PGM_RSRC2:USER_SGPR: 2
; COMPUTE_PGM_RSRC2:TRAP_HANDLER: 0
; COMPUTE_PGM_RSRC2:TGID_X_EN: 1
; COMPUTE_PGM_RSRC2:TGID_Y_EN: 0
; COMPUTE_PGM_RSRC2:TGID_Z_EN: 0
; COMPUTE_PGM_RSRC2:TIDIG_COMP_CNT: 0
	.section	.text._ZN7rocprim17ROCPRIM_400000_NS6detail17trampoline_kernelINS0_14default_configENS1_20scan_config_selectorIjEEZZNS1_9scan_implILNS1_25lookback_scan_determinismE0ELb1ELb1ES3_PjS8_jN6hipcub16HIPCUB_304000_NS3SumEjEEDaPvRmT3_T4_T5_mT6_P12ihipStream_tbENKUlT_T0_E_clISt17integral_constantIbLb0EESO_IbLb1EEEEDaSK_SL_EUlSK_E0_NS1_11comp_targetILNS1_3genE10ELNS1_11target_archE1201ELNS1_3gpuE5ELNS1_3repE0EEENS1_30default_config_static_selectorELNS0_4arch9wavefront6targetE0EEEvT1_,"axG",@progbits,_ZN7rocprim17ROCPRIM_400000_NS6detail17trampoline_kernelINS0_14default_configENS1_20scan_config_selectorIjEEZZNS1_9scan_implILNS1_25lookback_scan_determinismE0ELb1ELb1ES3_PjS8_jN6hipcub16HIPCUB_304000_NS3SumEjEEDaPvRmT3_T4_T5_mT6_P12ihipStream_tbENKUlT_T0_E_clISt17integral_constantIbLb0EESO_IbLb1EEEEDaSK_SL_EUlSK_E0_NS1_11comp_targetILNS1_3genE10ELNS1_11target_archE1201ELNS1_3gpuE5ELNS1_3repE0EEENS1_30default_config_static_selectorELNS0_4arch9wavefront6targetE0EEEvT1_,comdat
	.protected	_ZN7rocprim17ROCPRIM_400000_NS6detail17trampoline_kernelINS0_14default_configENS1_20scan_config_selectorIjEEZZNS1_9scan_implILNS1_25lookback_scan_determinismE0ELb1ELb1ES3_PjS8_jN6hipcub16HIPCUB_304000_NS3SumEjEEDaPvRmT3_T4_T5_mT6_P12ihipStream_tbENKUlT_T0_E_clISt17integral_constantIbLb0EESO_IbLb1EEEEDaSK_SL_EUlSK_E0_NS1_11comp_targetILNS1_3genE10ELNS1_11target_archE1201ELNS1_3gpuE5ELNS1_3repE0EEENS1_30default_config_static_selectorELNS0_4arch9wavefront6targetE0EEEvT1_ ; -- Begin function _ZN7rocprim17ROCPRIM_400000_NS6detail17trampoline_kernelINS0_14default_configENS1_20scan_config_selectorIjEEZZNS1_9scan_implILNS1_25lookback_scan_determinismE0ELb1ELb1ES3_PjS8_jN6hipcub16HIPCUB_304000_NS3SumEjEEDaPvRmT3_T4_T5_mT6_P12ihipStream_tbENKUlT_T0_E_clISt17integral_constantIbLb0EESO_IbLb1EEEEDaSK_SL_EUlSK_E0_NS1_11comp_targetILNS1_3genE10ELNS1_11target_archE1201ELNS1_3gpuE5ELNS1_3repE0EEENS1_30default_config_static_selectorELNS0_4arch9wavefront6targetE0EEEvT1_
	.globl	_ZN7rocprim17ROCPRIM_400000_NS6detail17trampoline_kernelINS0_14default_configENS1_20scan_config_selectorIjEEZZNS1_9scan_implILNS1_25lookback_scan_determinismE0ELb1ELb1ES3_PjS8_jN6hipcub16HIPCUB_304000_NS3SumEjEEDaPvRmT3_T4_T5_mT6_P12ihipStream_tbENKUlT_T0_E_clISt17integral_constantIbLb0EESO_IbLb1EEEEDaSK_SL_EUlSK_E0_NS1_11comp_targetILNS1_3genE10ELNS1_11target_archE1201ELNS1_3gpuE5ELNS1_3repE0EEENS1_30default_config_static_selectorELNS0_4arch9wavefront6targetE0EEEvT1_
	.p2align	8
	.type	_ZN7rocprim17ROCPRIM_400000_NS6detail17trampoline_kernelINS0_14default_configENS1_20scan_config_selectorIjEEZZNS1_9scan_implILNS1_25lookback_scan_determinismE0ELb1ELb1ES3_PjS8_jN6hipcub16HIPCUB_304000_NS3SumEjEEDaPvRmT3_T4_T5_mT6_P12ihipStream_tbENKUlT_T0_E_clISt17integral_constantIbLb0EESO_IbLb1EEEEDaSK_SL_EUlSK_E0_NS1_11comp_targetILNS1_3genE10ELNS1_11target_archE1201ELNS1_3gpuE5ELNS1_3repE0EEENS1_30default_config_static_selectorELNS0_4arch9wavefront6targetE0EEEvT1_,@function
_ZN7rocprim17ROCPRIM_400000_NS6detail17trampoline_kernelINS0_14default_configENS1_20scan_config_selectorIjEEZZNS1_9scan_implILNS1_25lookback_scan_determinismE0ELb1ELb1ES3_PjS8_jN6hipcub16HIPCUB_304000_NS3SumEjEEDaPvRmT3_T4_T5_mT6_P12ihipStream_tbENKUlT_T0_E_clISt17integral_constantIbLb0EESO_IbLb1EEEEDaSK_SL_EUlSK_E0_NS1_11comp_targetILNS1_3genE10ELNS1_11target_archE1201ELNS1_3gpuE5ELNS1_3repE0EEENS1_30default_config_static_selectorELNS0_4arch9wavefront6targetE0EEEvT1_: ; @_ZN7rocprim17ROCPRIM_400000_NS6detail17trampoline_kernelINS0_14default_configENS1_20scan_config_selectorIjEEZZNS1_9scan_implILNS1_25lookback_scan_determinismE0ELb1ELb1ES3_PjS8_jN6hipcub16HIPCUB_304000_NS3SumEjEEDaPvRmT3_T4_T5_mT6_P12ihipStream_tbENKUlT_T0_E_clISt17integral_constantIbLb0EESO_IbLb1EEEEDaSK_SL_EUlSK_E0_NS1_11comp_targetILNS1_3genE10ELNS1_11target_archE1201ELNS1_3gpuE5ELNS1_3repE0EEENS1_30default_config_static_selectorELNS0_4arch9wavefront6targetE0EEEvT1_
; %bb.0:
	.section	.rodata,"a",@progbits
	.p2align	6, 0x0
	.amdhsa_kernel _ZN7rocprim17ROCPRIM_400000_NS6detail17trampoline_kernelINS0_14default_configENS1_20scan_config_selectorIjEEZZNS1_9scan_implILNS1_25lookback_scan_determinismE0ELb1ELb1ES3_PjS8_jN6hipcub16HIPCUB_304000_NS3SumEjEEDaPvRmT3_T4_T5_mT6_P12ihipStream_tbENKUlT_T0_E_clISt17integral_constantIbLb0EESO_IbLb1EEEEDaSK_SL_EUlSK_E0_NS1_11comp_targetILNS1_3genE10ELNS1_11target_archE1201ELNS1_3gpuE5ELNS1_3repE0EEENS1_30default_config_static_selectorELNS0_4arch9wavefront6targetE0EEEvT1_
		.amdhsa_group_segment_fixed_size 0
		.amdhsa_private_segment_fixed_size 0
		.amdhsa_kernarg_size 32
		.amdhsa_user_sgpr_count 2
		.amdhsa_user_sgpr_dispatch_ptr 0
		.amdhsa_user_sgpr_queue_ptr 0
		.amdhsa_user_sgpr_kernarg_segment_ptr 1
		.amdhsa_user_sgpr_dispatch_id 0
		.amdhsa_user_sgpr_kernarg_preload_length 0
		.amdhsa_user_sgpr_kernarg_preload_offset 0
		.amdhsa_user_sgpr_private_segment_size 0
		.amdhsa_wavefront_size32 1
		.amdhsa_uses_dynamic_stack 0
		.amdhsa_enable_private_segment 0
		.amdhsa_system_sgpr_workgroup_id_x 1
		.amdhsa_system_sgpr_workgroup_id_y 0
		.amdhsa_system_sgpr_workgroup_id_z 0
		.amdhsa_system_sgpr_workgroup_info 0
		.amdhsa_system_vgpr_workitem_id 0
		.amdhsa_next_free_vgpr 1
		.amdhsa_next_free_sgpr 1
		.amdhsa_named_barrier_count 0
		.amdhsa_reserve_vcc 0
		.amdhsa_float_round_mode_32 0
		.amdhsa_float_round_mode_16_64 0
		.amdhsa_float_denorm_mode_32 3
		.amdhsa_float_denorm_mode_16_64 3
		.amdhsa_fp16_overflow 0
		.amdhsa_memory_ordered 1
		.amdhsa_forward_progress 1
		.amdhsa_inst_pref_size 0
		.amdhsa_round_robin_scheduling 0
		.amdhsa_exception_fp_ieee_invalid_op 0
		.amdhsa_exception_fp_denorm_src 0
		.amdhsa_exception_fp_ieee_div_zero 0
		.amdhsa_exception_fp_ieee_overflow 0
		.amdhsa_exception_fp_ieee_underflow 0
		.amdhsa_exception_fp_ieee_inexact 0
		.amdhsa_exception_int_div_zero 0
	.end_amdhsa_kernel
	.section	.text._ZN7rocprim17ROCPRIM_400000_NS6detail17trampoline_kernelINS0_14default_configENS1_20scan_config_selectorIjEEZZNS1_9scan_implILNS1_25lookback_scan_determinismE0ELb1ELb1ES3_PjS8_jN6hipcub16HIPCUB_304000_NS3SumEjEEDaPvRmT3_T4_T5_mT6_P12ihipStream_tbENKUlT_T0_E_clISt17integral_constantIbLb0EESO_IbLb1EEEEDaSK_SL_EUlSK_E0_NS1_11comp_targetILNS1_3genE10ELNS1_11target_archE1201ELNS1_3gpuE5ELNS1_3repE0EEENS1_30default_config_static_selectorELNS0_4arch9wavefront6targetE0EEEvT1_,"axG",@progbits,_ZN7rocprim17ROCPRIM_400000_NS6detail17trampoline_kernelINS0_14default_configENS1_20scan_config_selectorIjEEZZNS1_9scan_implILNS1_25lookback_scan_determinismE0ELb1ELb1ES3_PjS8_jN6hipcub16HIPCUB_304000_NS3SumEjEEDaPvRmT3_T4_T5_mT6_P12ihipStream_tbENKUlT_T0_E_clISt17integral_constantIbLb0EESO_IbLb1EEEEDaSK_SL_EUlSK_E0_NS1_11comp_targetILNS1_3genE10ELNS1_11target_archE1201ELNS1_3gpuE5ELNS1_3repE0EEENS1_30default_config_static_selectorELNS0_4arch9wavefront6targetE0EEEvT1_,comdat
.Lfunc_end81:
	.size	_ZN7rocprim17ROCPRIM_400000_NS6detail17trampoline_kernelINS0_14default_configENS1_20scan_config_selectorIjEEZZNS1_9scan_implILNS1_25lookback_scan_determinismE0ELb1ELb1ES3_PjS8_jN6hipcub16HIPCUB_304000_NS3SumEjEEDaPvRmT3_T4_T5_mT6_P12ihipStream_tbENKUlT_T0_E_clISt17integral_constantIbLb0EESO_IbLb1EEEEDaSK_SL_EUlSK_E0_NS1_11comp_targetILNS1_3genE10ELNS1_11target_archE1201ELNS1_3gpuE5ELNS1_3repE0EEENS1_30default_config_static_selectorELNS0_4arch9wavefront6targetE0EEEvT1_, .Lfunc_end81-_ZN7rocprim17ROCPRIM_400000_NS6detail17trampoline_kernelINS0_14default_configENS1_20scan_config_selectorIjEEZZNS1_9scan_implILNS1_25lookback_scan_determinismE0ELb1ELb1ES3_PjS8_jN6hipcub16HIPCUB_304000_NS3SumEjEEDaPvRmT3_T4_T5_mT6_P12ihipStream_tbENKUlT_T0_E_clISt17integral_constantIbLb0EESO_IbLb1EEEEDaSK_SL_EUlSK_E0_NS1_11comp_targetILNS1_3genE10ELNS1_11target_archE1201ELNS1_3gpuE5ELNS1_3repE0EEENS1_30default_config_static_selectorELNS0_4arch9wavefront6targetE0EEEvT1_
                                        ; -- End function
	.set _ZN7rocprim17ROCPRIM_400000_NS6detail17trampoline_kernelINS0_14default_configENS1_20scan_config_selectorIjEEZZNS1_9scan_implILNS1_25lookback_scan_determinismE0ELb1ELb1ES3_PjS8_jN6hipcub16HIPCUB_304000_NS3SumEjEEDaPvRmT3_T4_T5_mT6_P12ihipStream_tbENKUlT_T0_E_clISt17integral_constantIbLb0EESO_IbLb1EEEEDaSK_SL_EUlSK_E0_NS1_11comp_targetILNS1_3genE10ELNS1_11target_archE1201ELNS1_3gpuE5ELNS1_3repE0EEENS1_30default_config_static_selectorELNS0_4arch9wavefront6targetE0EEEvT1_.num_vgpr, 0
	.set _ZN7rocprim17ROCPRIM_400000_NS6detail17trampoline_kernelINS0_14default_configENS1_20scan_config_selectorIjEEZZNS1_9scan_implILNS1_25lookback_scan_determinismE0ELb1ELb1ES3_PjS8_jN6hipcub16HIPCUB_304000_NS3SumEjEEDaPvRmT3_T4_T5_mT6_P12ihipStream_tbENKUlT_T0_E_clISt17integral_constantIbLb0EESO_IbLb1EEEEDaSK_SL_EUlSK_E0_NS1_11comp_targetILNS1_3genE10ELNS1_11target_archE1201ELNS1_3gpuE5ELNS1_3repE0EEENS1_30default_config_static_selectorELNS0_4arch9wavefront6targetE0EEEvT1_.num_agpr, 0
	.set _ZN7rocprim17ROCPRIM_400000_NS6detail17trampoline_kernelINS0_14default_configENS1_20scan_config_selectorIjEEZZNS1_9scan_implILNS1_25lookback_scan_determinismE0ELb1ELb1ES3_PjS8_jN6hipcub16HIPCUB_304000_NS3SumEjEEDaPvRmT3_T4_T5_mT6_P12ihipStream_tbENKUlT_T0_E_clISt17integral_constantIbLb0EESO_IbLb1EEEEDaSK_SL_EUlSK_E0_NS1_11comp_targetILNS1_3genE10ELNS1_11target_archE1201ELNS1_3gpuE5ELNS1_3repE0EEENS1_30default_config_static_selectorELNS0_4arch9wavefront6targetE0EEEvT1_.numbered_sgpr, 0
	.set _ZN7rocprim17ROCPRIM_400000_NS6detail17trampoline_kernelINS0_14default_configENS1_20scan_config_selectorIjEEZZNS1_9scan_implILNS1_25lookback_scan_determinismE0ELb1ELb1ES3_PjS8_jN6hipcub16HIPCUB_304000_NS3SumEjEEDaPvRmT3_T4_T5_mT6_P12ihipStream_tbENKUlT_T0_E_clISt17integral_constantIbLb0EESO_IbLb1EEEEDaSK_SL_EUlSK_E0_NS1_11comp_targetILNS1_3genE10ELNS1_11target_archE1201ELNS1_3gpuE5ELNS1_3repE0EEENS1_30default_config_static_selectorELNS0_4arch9wavefront6targetE0EEEvT1_.num_named_barrier, 0
	.set _ZN7rocprim17ROCPRIM_400000_NS6detail17trampoline_kernelINS0_14default_configENS1_20scan_config_selectorIjEEZZNS1_9scan_implILNS1_25lookback_scan_determinismE0ELb1ELb1ES3_PjS8_jN6hipcub16HIPCUB_304000_NS3SumEjEEDaPvRmT3_T4_T5_mT6_P12ihipStream_tbENKUlT_T0_E_clISt17integral_constantIbLb0EESO_IbLb1EEEEDaSK_SL_EUlSK_E0_NS1_11comp_targetILNS1_3genE10ELNS1_11target_archE1201ELNS1_3gpuE5ELNS1_3repE0EEENS1_30default_config_static_selectorELNS0_4arch9wavefront6targetE0EEEvT1_.private_seg_size, 0
	.set _ZN7rocprim17ROCPRIM_400000_NS6detail17trampoline_kernelINS0_14default_configENS1_20scan_config_selectorIjEEZZNS1_9scan_implILNS1_25lookback_scan_determinismE0ELb1ELb1ES3_PjS8_jN6hipcub16HIPCUB_304000_NS3SumEjEEDaPvRmT3_T4_T5_mT6_P12ihipStream_tbENKUlT_T0_E_clISt17integral_constantIbLb0EESO_IbLb1EEEEDaSK_SL_EUlSK_E0_NS1_11comp_targetILNS1_3genE10ELNS1_11target_archE1201ELNS1_3gpuE5ELNS1_3repE0EEENS1_30default_config_static_selectorELNS0_4arch9wavefront6targetE0EEEvT1_.uses_vcc, 0
	.set _ZN7rocprim17ROCPRIM_400000_NS6detail17trampoline_kernelINS0_14default_configENS1_20scan_config_selectorIjEEZZNS1_9scan_implILNS1_25lookback_scan_determinismE0ELb1ELb1ES3_PjS8_jN6hipcub16HIPCUB_304000_NS3SumEjEEDaPvRmT3_T4_T5_mT6_P12ihipStream_tbENKUlT_T0_E_clISt17integral_constantIbLb0EESO_IbLb1EEEEDaSK_SL_EUlSK_E0_NS1_11comp_targetILNS1_3genE10ELNS1_11target_archE1201ELNS1_3gpuE5ELNS1_3repE0EEENS1_30default_config_static_selectorELNS0_4arch9wavefront6targetE0EEEvT1_.uses_flat_scratch, 0
	.set _ZN7rocprim17ROCPRIM_400000_NS6detail17trampoline_kernelINS0_14default_configENS1_20scan_config_selectorIjEEZZNS1_9scan_implILNS1_25lookback_scan_determinismE0ELb1ELb1ES3_PjS8_jN6hipcub16HIPCUB_304000_NS3SumEjEEDaPvRmT3_T4_T5_mT6_P12ihipStream_tbENKUlT_T0_E_clISt17integral_constantIbLb0EESO_IbLb1EEEEDaSK_SL_EUlSK_E0_NS1_11comp_targetILNS1_3genE10ELNS1_11target_archE1201ELNS1_3gpuE5ELNS1_3repE0EEENS1_30default_config_static_selectorELNS0_4arch9wavefront6targetE0EEEvT1_.has_dyn_sized_stack, 0
	.set _ZN7rocprim17ROCPRIM_400000_NS6detail17trampoline_kernelINS0_14default_configENS1_20scan_config_selectorIjEEZZNS1_9scan_implILNS1_25lookback_scan_determinismE0ELb1ELb1ES3_PjS8_jN6hipcub16HIPCUB_304000_NS3SumEjEEDaPvRmT3_T4_T5_mT6_P12ihipStream_tbENKUlT_T0_E_clISt17integral_constantIbLb0EESO_IbLb1EEEEDaSK_SL_EUlSK_E0_NS1_11comp_targetILNS1_3genE10ELNS1_11target_archE1201ELNS1_3gpuE5ELNS1_3repE0EEENS1_30default_config_static_selectorELNS0_4arch9wavefront6targetE0EEEvT1_.has_recursion, 0
	.set _ZN7rocprim17ROCPRIM_400000_NS6detail17trampoline_kernelINS0_14default_configENS1_20scan_config_selectorIjEEZZNS1_9scan_implILNS1_25lookback_scan_determinismE0ELb1ELb1ES3_PjS8_jN6hipcub16HIPCUB_304000_NS3SumEjEEDaPvRmT3_T4_T5_mT6_P12ihipStream_tbENKUlT_T0_E_clISt17integral_constantIbLb0EESO_IbLb1EEEEDaSK_SL_EUlSK_E0_NS1_11comp_targetILNS1_3genE10ELNS1_11target_archE1201ELNS1_3gpuE5ELNS1_3repE0EEENS1_30default_config_static_selectorELNS0_4arch9wavefront6targetE0EEEvT1_.has_indirect_call, 0
	.section	.AMDGPU.csdata,"",@progbits
; Kernel info:
; codeLenInByte = 0
; TotalNumSgprs: 0
; NumVgprs: 0
; ScratchSize: 0
; MemoryBound: 0
; FloatMode: 240
; IeeeMode: 1
; LDSByteSize: 0 bytes/workgroup (compile time only)
; SGPRBlocks: 0
; VGPRBlocks: 0
; NumSGPRsForWavesPerEU: 1
; NumVGPRsForWavesPerEU: 1
; NamedBarCnt: 0
; Occupancy: 16
; WaveLimiterHint : 0
; COMPUTE_PGM_RSRC2:SCRATCH_EN: 0
; COMPUTE_PGM_RSRC2:USER_SGPR: 2
; COMPUTE_PGM_RSRC2:TRAP_HANDLER: 0
; COMPUTE_PGM_RSRC2:TGID_X_EN: 1
; COMPUTE_PGM_RSRC2:TGID_Y_EN: 0
; COMPUTE_PGM_RSRC2:TGID_Z_EN: 0
; COMPUTE_PGM_RSRC2:TIDIG_COMP_CNT: 0
	.section	.text._ZN7rocprim17ROCPRIM_400000_NS6detail17trampoline_kernelINS0_14default_configENS1_20scan_config_selectorIjEEZZNS1_9scan_implILNS1_25lookback_scan_determinismE0ELb1ELb1ES3_PjS8_jN6hipcub16HIPCUB_304000_NS3SumEjEEDaPvRmT3_T4_T5_mT6_P12ihipStream_tbENKUlT_T0_E_clISt17integral_constantIbLb0EESO_IbLb1EEEEDaSK_SL_EUlSK_E0_NS1_11comp_targetILNS1_3genE10ELNS1_11target_archE1200ELNS1_3gpuE4ELNS1_3repE0EEENS1_30default_config_static_selectorELNS0_4arch9wavefront6targetE0EEEvT1_,"axG",@progbits,_ZN7rocprim17ROCPRIM_400000_NS6detail17trampoline_kernelINS0_14default_configENS1_20scan_config_selectorIjEEZZNS1_9scan_implILNS1_25lookback_scan_determinismE0ELb1ELb1ES3_PjS8_jN6hipcub16HIPCUB_304000_NS3SumEjEEDaPvRmT3_T4_T5_mT6_P12ihipStream_tbENKUlT_T0_E_clISt17integral_constantIbLb0EESO_IbLb1EEEEDaSK_SL_EUlSK_E0_NS1_11comp_targetILNS1_3genE10ELNS1_11target_archE1200ELNS1_3gpuE4ELNS1_3repE0EEENS1_30default_config_static_selectorELNS0_4arch9wavefront6targetE0EEEvT1_,comdat
	.protected	_ZN7rocprim17ROCPRIM_400000_NS6detail17trampoline_kernelINS0_14default_configENS1_20scan_config_selectorIjEEZZNS1_9scan_implILNS1_25lookback_scan_determinismE0ELb1ELb1ES3_PjS8_jN6hipcub16HIPCUB_304000_NS3SumEjEEDaPvRmT3_T4_T5_mT6_P12ihipStream_tbENKUlT_T0_E_clISt17integral_constantIbLb0EESO_IbLb1EEEEDaSK_SL_EUlSK_E0_NS1_11comp_targetILNS1_3genE10ELNS1_11target_archE1200ELNS1_3gpuE4ELNS1_3repE0EEENS1_30default_config_static_selectorELNS0_4arch9wavefront6targetE0EEEvT1_ ; -- Begin function _ZN7rocprim17ROCPRIM_400000_NS6detail17trampoline_kernelINS0_14default_configENS1_20scan_config_selectorIjEEZZNS1_9scan_implILNS1_25lookback_scan_determinismE0ELb1ELb1ES3_PjS8_jN6hipcub16HIPCUB_304000_NS3SumEjEEDaPvRmT3_T4_T5_mT6_P12ihipStream_tbENKUlT_T0_E_clISt17integral_constantIbLb0EESO_IbLb1EEEEDaSK_SL_EUlSK_E0_NS1_11comp_targetILNS1_3genE10ELNS1_11target_archE1200ELNS1_3gpuE4ELNS1_3repE0EEENS1_30default_config_static_selectorELNS0_4arch9wavefront6targetE0EEEvT1_
	.globl	_ZN7rocprim17ROCPRIM_400000_NS6detail17trampoline_kernelINS0_14default_configENS1_20scan_config_selectorIjEEZZNS1_9scan_implILNS1_25lookback_scan_determinismE0ELb1ELb1ES3_PjS8_jN6hipcub16HIPCUB_304000_NS3SumEjEEDaPvRmT3_T4_T5_mT6_P12ihipStream_tbENKUlT_T0_E_clISt17integral_constantIbLb0EESO_IbLb1EEEEDaSK_SL_EUlSK_E0_NS1_11comp_targetILNS1_3genE10ELNS1_11target_archE1200ELNS1_3gpuE4ELNS1_3repE0EEENS1_30default_config_static_selectorELNS0_4arch9wavefront6targetE0EEEvT1_
	.p2align	8
	.type	_ZN7rocprim17ROCPRIM_400000_NS6detail17trampoline_kernelINS0_14default_configENS1_20scan_config_selectorIjEEZZNS1_9scan_implILNS1_25lookback_scan_determinismE0ELb1ELb1ES3_PjS8_jN6hipcub16HIPCUB_304000_NS3SumEjEEDaPvRmT3_T4_T5_mT6_P12ihipStream_tbENKUlT_T0_E_clISt17integral_constantIbLb0EESO_IbLb1EEEEDaSK_SL_EUlSK_E0_NS1_11comp_targetILNS1_3genE10ELNS1_11target_archE1200ELNS1_3gpuE4ELNS1_3repE0EEENS1_30default_config_static_selectorELNS0_4arch9wavefront6targetE0EEEvT1_,@function
_ZN7rocprim17ROCPRIM_400000_NS6detail17trampoline_kernelINS0_14default_configENS1_20scan_config_selectorIjEEZZNS1_9scan_implILNS1_25lookback_scan_determinismE0ELb1ELb1ES3_PjS8_jN6hipcub16HIPCUB_304000_NS3SumEjEEDaPvRmT3_T4_T5_mT6_P12ihipStream_tbENKUlT_T0_E_clISt17integral_constantIbLb0EESO_IbLb1EEEEDaSK_SL_EUlSK_E0_NS1_11comp_targetILNS1_3genE10ELNS1_11target_archE1200ELNS1_3gpuE4ELNS1_3repE0EEENS1_30default_config_static_selectorELNS0_4arch9wavefront6targetE0EEEvT1_: ; @_ZN7rocprim17ROCPRIM_400000_NS6detail17trampoline_kernelINS0_14default_configENS1_20scan_config_selectorIjEEZZNS1_9scan_implILNS1_25lookback_scan_determinismE0ELb1ELb1ES3_PjS8_jN6hipcub16HIPCUB_304000_NS3SumEjEEDaPvRmT3_T4_T5_mT6_P12ihipStream_tbENKUlT_T0_E_clISt17integral_constantIbLb0EESO_IbLb1EEEEDaSK_SL_EUlSK_E0_NS1_11comp_targetILNS1_3genE10ELNS1_11target_archE1200ELNS1_3gpuE4ELNS1_3repE0EEENS1_30default_config_static_selectorELNS0_4arch9wavefront6targetE0EEEvT1_
; %bb.0:
	.section	.rodata,"a",@progbits
	.p2align	6, 0x0
	.amdhsa_kernel _ZN7rocprim17ROCPRIM_400000_NS6detail17trampoline_kernelINS0_14default_configENS1_20scan_config_selectorIjEEZZNS1_9scan_implILNS1_25lookback_scan_determinismE0ELb1ELb1ES3_PjS8_jN6hipcub16HIPCUB_304000_NS3SumEjEEDaPvRmT3_T4_T5_mT6_P12ihipStream_tbENKUlT_T0_E_clISt17integral_constantIbLb0EESO_IbLb1EEEEDaSK_SL_EUlSK_E0_NS1_11comp_targetILNS1_3genE10ELNS1_11target_archE1200ELNS1_3gpuE4ELNS1_3repE0EEENS1_30default_config_static_selectorELNS0_4arch9wavefront6targetE0EEEvT1_
		.amdhsa_group_segment_fixed_size 0
		.amdhsa_private_segment_fixed_size 0
		.amdhsa_kernarg_size 32
		.amdhsa_user_sgpr_count 2
		.amdhsa_user_sgpr_dispatch_ptr 0
		.amdhsa_user_sgpr_queue_ptr 0
		.amdhsa_user_sgpr_kernarg_segment_ptr 1
		.amdhsa_user_sgpr_dispatch_id 0
		.amdhsa_user_sgpr_kernarg_preload_length 0
		.amdhsa_user_sgpr_kernarg_preload_offset 0
		.amdhsa_user_sgpr_private_segment_size 0
		.amdhsa_wavefront_size32 1
		.amdhsa_uses_dynamic_stack 0
		.amdhsa_enable_private_segment 0
		.amdhsa_system_sgpr_workgroup_id_x 1
		.amdhsa_system_sgpr_workgroup_id_y 0
		.amdhsa_system_sgpr_workgroup_id_z 0
		.amdhsa_system_sgpr_workgroup_info 0
		.amdhsa_system_vgpr_workitem_id 0
		.amdhsa_next_free_vgpr 1
		.amdhsa_next_free_sgpr 1
		.amdhsa_named_barrier_count 0
		.amdhsa_reserve_vcc 0
		.amdhsa_float_round_mode_32 0
		.amdhsa_float_round_mode_16_64 0
		.amdhsa_float_denorm_mode_32 3
		.amdhsa_float_denorm_mode_16_64 3
		.amdhsa_fp16_overflow 0
		.amdhsa_memory_ordered 1
		.amdhsa_forward_progress 1
		.amdhsa_inst_pref_size 0
		.amdhsa_round_robin_scheduling 0
		.amdhsa_exception_fp_ieee_invalid_op 0
		.amdhsa_exception_fp_denorm_src 0
		.amdhsa_exception_fp_ieee_div_zero 0
		.amdhsa_exception_fp_ieee_overflow 0
		.amdhsa_exception_fp_ieee_underflow 0
		.amdhsa_exception_fp_ieee_inexact 0
		.amdhsa_exception_int_div_zero 0
	.end_amdhsa_kernel
	.section	.text._ZN7rocprim17ROCPRIM_400000_NS6detail17trampoline_kernelINS0_14default_configENS1_20scan_config_selectorIjEEZZNS1_9scan_implILNS1_25lookback_scan_determinismE0ELb1ELb1ES3_PjS8_jN6hipcub16HIPCUB_304000_NS3SumEjEEDaPvRmT3_T4_T5_mT6_P12ihipStream_tbENKUlT_T0_E_clISt17integral_constantIbLb0EESO_IbLb1EEEEDaSK_SL_EUlSK_E0_NS1_11comp_targetILNS1_3genE10ELNS1_11target_archE1200ELNS1_3gpuE4ELNS1_3repE0EEENS1_30default_config_static_selectorELNS0_4arch9wavefront6targetE0EEEvT1_,"axG",@progbits,_ZN7rocprim17ROCPRIM_400000_NS6detail17trampoline_kernelINS0_14default_configENS1_20scan_config_selectorIjEEZZNS1_9scan_implILNS1_25lookback_scan_determinismE0ELb1ELb1ES3_PjS8_jN6hipcub16HIPCUB_304000_NS3SumEjEEDaPvRmT3_T4_T5_mT6_P12ihipStream_tbENKUlT_T0_E_clISt17integral_constantIbLb0EESO_IbLb1EEEEDaSK_SL_EUlSK_E0_NS1_11comp_targetILNS1_3genE10ELNS1_11target_archE1200ELNS1_3gpuE4ELNS1_3repE0EEENS1_30default_config_static_selectorELNS0_4arch9wavefront6targetE0EEEvT1_,comdat
.Lfunc_end82:
	.size	_ZN7rocprim17ROCPRIM_400000_NS6detail17trampoline_kernelINS0_14default_configENS1_20scan_config_selectorIjEEZZNS1_9scan_implILNS1_25lookback_scan_determinismE0ELb1ELb1ES3_PjS8_jN6hipcub16HIPCUB_304000_NS3SumEjEEDaPvRmT3_T4_T5_mT6_P12ihipStream_tbENKUlT_T0_E_clISt17integral_constantIbLb0EESO_IbLb1EEEEDaSK_SL_EUlSK_E0_NS1_11comp_targetILNS1_3genE10ELNS1_11target_archE1200ELNS1_3gpuE4ELNS1_3repE0EEENS1_30default_config_static_selectorELNS0_4arch9wavefront6targetE0EEEvT1_, .Lfunc_end82-_ZN7rocprim17ROCPRIM_400000_NS6detail17trampoline_kernelINS0_14default_configENS1_20scan_config_selectorIjEEZZNS1_9scan_implILNS1_25lookback_scan_determinismE0ELb1ELb1ES3_PjS8_jN6hipcub16HIPCUB_304000_NS3SumEjEEDaPvRmT3_T4_T5_mT6_P12ihipStream_tbENKUlT_T0_E_clISt17integral_constantIbLb0EESO_IbLb1EEEEDaSK_SL_EUlSK_E0_NS1_11comp_targetILNS1_3genE10ELNS1_11target_archE1200ELNS1_3gpuE4ELNS1_3repE0EEENS1_30default_config_static_selectorELNS0_4arch9wavefront6targetE0EEEvT1_
                                        ; -- End function
	.set _ZN7rocprim17ROCPRIM_400000_NS6detail17trampoline_kernelINS0_14default_configENS1_20scan_config_selectorIjEEZZNS1_9scan_implILNS1_25lookback_scan_determinismE0ELb1ELb1ES3_PjS8_jN6hipcub16HIPCUB_304000_NS3SumEjEEDaPvRmT3_T4_T5_mT6_P12ihipStream_tbENKUlT_T0_E_clISt17integral_constantIbLb0EESO_IbLb1EEEEDaSK_SL_EUlSK_E0_NS1_11comp_targetILNS1_3genE10ELNS1_11target_archE1200ELNS1_3gpuE4ELNS1_3repE0EEENS1_30default_config_static_selectorELNS0_4arch9wavefront6targetE0EEEvT1_.num_vgpr, 0
	.set _ZN7rocprim17ROCPRIM_400000_NS6detail17trampoline_kernelINS0_14default_configENS1_20scan_config_selectorIjEEZZNS1_9scan_implILNS1_25lookback_scan_determinismE0ELb1ELb1ES3_PjS8_jN6hipcub16HIPCUB_304000_NS3SumEjEEDaPvRmT3_T4_T5_mT6_P12ihipStream_tbENKUlT_T0_E_clISt17integral_constantIbLb0EESO_IbLb1EEEEDaSK_SL_EUlSK_E0_NS1_11comp_targetILNS1_3genE10ELNS1_11target_archE1200ELNS1_3gpuE4ELNS1_3repE0EEENS1_30default_config_static_selectorELNS0_4arch9wavefront6targetE0EEEvT1_.num_agpr, 0
	.set _ZN7rocprim17ROCPRIM_400000_NS6detail17trampoline_kernelINS0_14default_configENS1_20scan_config_selectorIjEEZZNS1_9scan_implILNS1_25lookback_scan_determinismE0ELb1ELb1ES3_PjS8_jN6hipcub16HIPCUB_304000_NS3SumEjEEDaPvRmT3_T4_T5_mT6_P12ihipStream_tbENKUlT_T0_E_clISt17integral_constantIbLb0EESO_IbLb1EEEEDaSK_SL_EUlSK_E0_NS1_11comp_targetILNS1_3genE10ELNS1_11target_archE1200ELNS1_3gpuE4ELNS1_3repE0EEENS1_30default_config_static_selectorELNS0_4arch9wavefront6targetE0EEEvT1_.numbered_sgpr, 0
	.set _ZN7rocprim17ROCPRIM_400000_NS6detail17trampoline_kernelINS0_14default_configENS1_20scan_config_selectorIjEEZZNS1_9scan_implILNS1_25lookback_scan_determinismE0ELb1ELb1ES3_PjS8_jN6hipcub16HIPCUB_304000_NS3SumEjEEDaPvRmT3_T4_T5_mT6_P12ihipStream_tbENKUlT_T0_E_clISt17integral_constantIbLb0EESO_IbLb1EEEEDaSK_SL_EUlSK_E0_NS1_11comp_targetILNS1_3genE10ELNS1_11target_archE1200ELNS1_3gpuE4ELNS1_3repE0EEENS1_30default_config_static_selectorELNS0_4arch9wavefront6targetE0EEEvT1_.num_named_barrier, 0
	.set _ZN7rocprim17ROCPRIM_400000_NS6detail17trampoline_kernelINS0_14default_configENS1_20scan_config_selectorIjEEZZNS1_9scan_implILNS1_25lookback_scan_determinismE0ELb1ELb1ES3_PjS8_jN6hipcub16HIPCUB_304000_NS3SumEjEEDaPvRmT3_T4_T5_mT6_P12ihipStream_tbENKUlT_T0_E_clISt17integral_constantIbLb0EESO_IbLb1EEEEDaSK_SL_EUlSK_E0_NS1_11comp_targetILNS1_3genE10ELNS1_11target_archE1200ELNS1_3gpuE4ELNS1_3repE0EEENS1_30default_config_static_selectorELNS0_4arch9wavefront6targetE0EEEvT1_.private_seg_size, 0
	.set _ZN7rocprim17ROCPRIM_400000_NS6detail17trampoline_kernelINS0_14default_configENS1_20scan_config_selectorIjEEZZNS1_9scan_implILNS1_25lookback_scan_determinismE0ELb1ELb1ES3_PjS8_jN6hipcub16HIPCUB_304000_NS3SumEjEEDaPvRmT3_T4_T5_mT6_P12ihipStream_tbENKUlT_T0_E_clISt17integral_constantIbLb0EESO_IbLb1EEEEDaSK_SL_EUlSK_E0_NS1_11comp_targetILNS1_3genE10ELNS1_11target_archE1200ELNS1_3gpuE4ELNS1_3repE0EEENS1_30default_config_static_selectorELNS0_4arch9wavefront6targetE0EEEvT1_.uses_vcc, 0
	.set _ZN7rocprim17ROCPRIM_400000_NS6detail17trampoline_kernelINS0_14default_configENS1_20scan_config_selectorIjEEZZNS1_9scan_implILNS1_25lookback_scan_determinismE0ELb1ELb1ES3_PjS8_jN6hipcub16HIPCUB_304000_NS3SumEjEEDaPvRmT3_T4_T5_mT6_P12ihipStream_tbENKUlT_T0_E_clISt17integral_constantIbLb0EESO_IbLb1EEEEDaSK_SL_EUlSK_E0_NS1_11comp_targetILNS1_3genE10ELNS1_11target_archE1200ELNS1_3gpuE4ELNS1_3repE0EEENS1_30default_config_static_selectorELNS0_4arch9wavefront6targetE0EEEvT1_.uses_flat_scratch, 0
	.set _ZN7rocprim17ROCPRIM_400000_NS6detail17trampoline_kernelINS0_14default_configENS1_20scan_config_selectorIjEEZZNS1_9scan_implILNS1_25lookback_scan_determinismE0ELb1ELb1ES3_PjS8_jN6hipcub16HIPCUB_304000_NS3SumEjEEDaPvRmT3_T4_T5_mT6_P12ihipStream_tbENKUlT_T0_E_clISt17integral_constantIbLb0EESO_IbLb1EEEEDaSK_SL_EUlSK_E0_NS1_11comp_targetILNS1_3genE10ELNS1_11target_archE1200ELNS1_3gpuE4ELNS1_3repE0EEENS1_30default_config_static_selectorELNS0_4arch9wavefront6targetE0EEEvT1_.has_dyn_sized_stack, 0
	.set _ZN7rocprim17ROCPRIM_400000_NS6detail17trampoline_kernelINS0_14default_configENS1_20scan_config_selectorIjEEZZNS1_9scan_implILNS1_25lookback_scan_determinismE0ELb1ELb1ES3_PjS8_jN6hipcub16HIPCUB_304000_NS3SumEjEEDaPvRmT3_T4_T5_mT6_P12ihipStream_tbENKUlT_T0_E_clISt17integral_constantIbLb0EESO_IbLb1EEEEDaSK_SL_EUlSK_E0_NS1_11comp_targetILNS1_3genE10ELNS1_11target_archE1200ELNS1_3gpuE4ELNS1_3repE0EEENS1_30default_config_static_selectorELNS0_4arch9wavefront6targetE0EEEvT1_.has_recursion, 0
	.set _ZN7rocprim17ROCPRIM_400000_NS6detail17trampoline_kernelINS0_14default_configENS1_20scan_config_selectorIjEEZZNS1_9scan_implILNS1_25lookback_scan_determinismE0ELb1ELb1ES3_PjS8_jN6hipcub16HIPCUB_304000_NS3SumEjEEDaPvRmT3_T4_T5_mT6_P12ihipStream_tbENKUlT_T0_E_clISt17integral_constantIbLb0EESO_IbLb1EEEEDaSK_SL_EUlSK_E0_NS1_11comp_targetILNS1_3genE10ELNS1_11target_archE1200ELNS1_3gpuE4ELNS1_3repE0EEENS1_30default_config_static_selectorELNS0_4arch9wavefront6targetE0EEEvT1_.has_indirect_call, 0
	.section	.AMDGPU.csdata,"",@progbits
; Kernel info:
; codeLenInByte = 0
; TotalNumSgprs: 0
; NumVgprs: 0
; ScratchSize: 0
; MemoryBound: 0
; FloatMode: 240
; IeeeMode: 1
; LDSByteSize: 0 bytes/workgroup (compile time only)
; SGPRBlocks: 0
; VGPRBlocks: 0
; NumSGPRsForWavesPerEU: 1
; NumVGPRsForWavesPerEU: 1
; NamedBarCnt: 0
; Occupancy: 16
; WaveLimiterHint : 0
; COMPUTE_PGM_RSRC2:SCRATCH_EN: 0
; COMPUTE_PGM_RSRC2:USER_SGPR: 2
; COMPUTE_PGM_RSRC2:TRAP_HANDLER: 0
; COMPUTE_PGM_RSRC2:TGID_X_EN: 1
; COMPUTE_PGM_RSRC2:TGID_Y_EN: 0
; COMPUTE_PGM_RSRC2:TGID_Z_EN: 0
; COMPUTE_PGM_RSRC2:TIDIG_COMP_CNT: 0
	.section	.text._ZN7rocprim17ROCPRIM_400000_NS6detail17trampoline_kernelINS0_14default_configENS1_20scan_config_selectorIjEEZZNS1_9scan_implILNS1_25lookback_scan_determinismE0ELb1ELb1ES3_PjS8_jN6hipcub16HIPCUB_304000_NS3SumEjEEDaPvRmT3_T4_T5_mT6_P12ihipStream_tbENKUlT_T0_E_clISt17integral_constantIbLb0EESO_IbLb1EEEEDaSK_SL_EUlSK_E0_NS1_11comp_targetILNS1_3genE9ELNS1_11target_archE1100ELNS1_3gpuE3ELNS1_3repE0EEENS1_30default_config_static_selectorELNS0_4arch9wavefront6targetE0EEEvT1_,"axG",@progbits,_ZN7rocprim17ROCPRIM_400000_NS6detail17trampoline_kernelINS0_14default_configENS1_20scan_config_selectorIjEEZZNS1_9scan_implILNS1_25lookback_scan_determinismE0ELb1ELb1ES3_PjS8_jN6hipcub16HIPCUB_304000_NS3SumEjEEDaPvRmT3_T4_T5_mT6_P12ihipStream_tbENKUlT_T0_E_clISt17integral_constantIbLb0EESO_IbLb1EEEEDaSK_SL_EUlSK_E0_NS1_11comp_targetILNS1_3genE9ELNS1_11target_archE1100ELNS1_3gpuE3ELNS1_3repE0EEENS1_30default_config_static_selectorELNS0_4arch9wavefront6targetE0EEEvT1_,comdat
	.protected	_ZN7rocprim17ROCPRIM_400000_NS6detail17trampoline_kernelINS0_14default_configENS1_20scan_config_selectorIjEEZZNS1_9scan_implILNS1_25lookback_scan_determinismE0ELb1ELb1ES3_PjS8_jN6hipcub16HIPCUB_304000_NS3SumEjEEDaPvRmT3_T4_T5_mT6_P12ihipStream_tbENKUlT_T0_E_clISt17integral_constantIbLb0EESO_IbLb1EEEEDaSK_SL_EUlSK_E0_NS1_11comp_targetILNS1_3genE9ELNS1_11target_archE1100ELNS1_3gpuE3ELNS1_3repE0EEENS1_30default_config_static_selectorELNS0_4arch9wavefront6targetE0EEEvT1_ ; -- Begin function _ZN7rocprim17ROCPRIM_400000_NS6detail17trampoline_kernelINS0_14default_configENS1_20scan_config_selectorIjEEZZNS1_9scan_implILNS1_25lookback_scan_determinismE0ELb1ELb1ES3_PjS8_jN6hipcub16HIPCUB_304000_NS3SumEjEEDaPvRmT3_T4_T5_mT6_P12ihipStream_tbENKUlT_T0_E_clISt17integral_constantIbLb0EESO_IbLb1EEEEDaSK_SL_EUlSK_E0_NS1_11comp_targetILNS1_3genE9ELNS1_11target_archE1100ELNS1_3gpuE3ELNS1_3repE0EEENS1_30default_config_static_selectorELNS0_4arch9wavefront6targetE0EEEvT1_
	.globl	_ZN7rocprim17ROCPRIM_400000_NS6detail17trampoline_kernelINS0_14default_configENS1_20scan_config_selectorIjEEZZNS1_9scan_implILNS1_25lookback_scan_determinismE0ELb1ELb1ES3_PjS8_jN6hipcub16HIPCUB_304000_NS3SumEjEEDaPvRmT3_T4_T5_mT6_P12ihipStream_tbENKUlT_T0_E_clISt17integral_constantIbLb0EESO_IbLb1EEEEDaSK_SL_EUlSK_E0_NS1_11comp_targetILNS1_3genE9ELNS1_11target_archE1100ELNS1_3gpuE3ELNS1_3repE0EEENS1_30default_config_static_selectorELNS0_4arch9wavefront6targetE0EEEvT1_
	.p2align	8
	.type	_ZN7rocprim17ROCPRIM_400000_NS6detail17trampoline_kernelINS0_14default_configENS1_20scan_config_selectorIjEEZZNS1_9scan_implILNS1_25lookback_scan_determinismE0ELb1ELb1ES3_PjS8_jN6hipcub16HIPCUB_304000_NS3SumEjEEDaPvRmT3_T4_T5_mT6_P12ihipStream_tbENKUlT_T0_E_clISt17integral_constantIbLb0EESO_IbLb1EEEEDaSK_SL_EUlSK_E0_NS1_11comp_targetILNS1_3genE9ELNS1_11target_archE1100ELNS1_3gpuE3ELNS1_3repE0EEENS1_30default_config_static_selectorELNS0_4arch9wavefront6targetE0EEEvT1_,@function
_ZN7rocprim17ROCPRIM_400000_NS6detail17trampoline_kernelINS0_14default_configENS1_20scan_config_selectorIjEEZZNS1_9scan_implILNS1_25lookback_scan_determinismE0ELb1ELb1ES3_PjS8_jN6hipcub16HIPCUB_304000_NS3SumEjEEDaPvRmT3_T4_T5_mT6_P12ihipStream_tbENKUlT_T0_E_clISt17integral_constantIbLb0EESO_IbLb1EEEEDaSK_SL_EUlSK_E0_NS1_11comp_targetILNS1_3genE9ELNS1_11target_archE1100ELNS1_3gpuE3ELNS1_3repE0EEENS1_30default_config_static_selectorELNS0_4arch9wavefront6targetE0EEEvT1_: ; @_ZN7rocprim17ROCPRIM_400000_NS6detail17trampoline_kernelINS0_14default_configENS1_20scan_config_selectorIjEEZZNS1_9scan_implILNS1_25lookback_scan_determinismE0ELb1ELb1ES3_PjS8_jN6hipcub16HIPCUB_304000_NS3SumEjEEDaPvRmT3_T4_T5_mT6_P12ihipStream_tbENKUlT_T0_E_clISt17integral_constantIbLb0EESO_IbLb1EEEEDaSK_SL_EUlSK_E0_NS1_11comp_targetILNS1_3genE9ELNS1_11target_archE1100ELNS1_3gpuE3ELNS1_3repE0EEENS1_30default_config_static_selectorELNS0_4arch9wavefront6targetE0EEEvT1_
; %bb.0:
	.section	.rodata,"a",@progbits
	.p2align	6, 0x0
	.amdhsa_kernel _ZN7rocprim17ROCPRIM_400000_NS6detail17trampoline_kernelINS0_14default_configENS1_20scan_config_selectorIjEEZZNS1_9scan_implILNS1_25lookback_scan_determinismE0ELb1ELb1ES3_PjS8_jN6hipcub16HIPCUB_304000_NS3SumEjEEDaPvRmT3_T4_T5_mT6_P12ihipStream_tbENKUlT_T0_E_clISt17integral_constantIbLb0EESO_IbLb1EEEEDaSK_SL_EUlSK_E0_NS1_11comp_targetILNS1_3genE9ELNS1_11target_archE1100ELNS1_3gpuE3ELNS1_3repE0EEENS1_30default_config_static_selectorELNS0_4arch9wavefront6targetE0EEEvT1_
		.amdhsa_group_segment_fixed_size 0
		.amdhsa_private_segment_fixed_size 0
		.amdhsa_kernarg_size 32
		.amdhsa_user_sgpr_count 2
		.amdhsa_user_sgpr_dispatch_ptr 0
		.amdhsa_user_sgpr_queue_ptr 0
		.amdhsa_user_sgpr_kernarg_segment_ptr 1
		.amdhsa_user_sgpr_dispatch_id 0
		.amdhsa_user_sgpr_kernarg_preload_length 0
		.amdhsa_user_sgpr_kernarg_preload_offset 0
		.amdhsa_user_sgpr_private_segment_size 0
		.amdhsa_wavefront_size32 1
		.amdhsa_uses_dynamic_stack 0
		.amdhsa_enable_private_segment 0
		.amdhsa_system_sgpr_workgroup_id_x 1
		.amdhsa_system_sgpr_workgroup_id_y 0
		.amdhsa_system_sgpr_workgroup_id_z 0
		.amdhsa_system_sgpr_workgroup_info 0
		.amdhsa_system_vgpr_workitem_id 0
		.amdhsa_next_free_vgpr 1
		.amdhsa_next_free_sgpr 1
		.amdhsa_named_barrier_count 0
		.amdhsa_reserve_vcc 0
		.amdhsa_float_round_mode_32 0
		.amdhsa_float_round_mode_16_64 0
		.amdhsa_float_denorm_mode_32 3
		.amdhsa_float_denorm_mode_16_64 3
		.amdhsa_fp16_overflow 0
		.amdhsa_memory_ordered 1
		.amdhsa_forward_progress 1
		.amdhsa_inst_pref_size 0
		.amdhsa_round_robin_scheduling 0
		.amdhsa_exception_fp_ieee_invalid_op 0
		.amdhsa_exception_fp_denorm_src 0
		.amdhsa_exception_fp_ieee_div_zero 0
		.amdhsa_exception_fp_ieee_overflow 0
		.amdhsa_exception_fp_ieee_underflow 0
		.amdhsa_exception_fp_ieee_inexact 0
		.amdhsa_exception_int_div_zero 0
	.end_amdhsa_kernel
	.section	.text._ZN7rocprim17ROCPRIM_400000_NS6detail17trampoline_kernelINS0_14default_configENS1_20scan_config_selectorIjEEZZNS1_9scan_implILNS1_25lookback_scan_determinismE0ELb1ELb1ES3_PjS8_jN6hipcub16HIPCUB_304000_NS3SumEjEEDaPvRmT3_T4_T5_mT6_P12ihipStream_tbENKUlT_T0_E_clISt17integral_constantIbLb0EESO_IbLb1EEEEDaSK_SL_EUlSK_E0_NS1_11comp_targetILNS1_3genE9ELNS1_11target_archE1100ELNS1_3gpuE3ELNS1_3repE0EEENS1_30default_config_static_selectorELNS0_4arch9wavefront6targetE0EEEvT1_,"axG",@progbits,_ZN7rocprim17ROCPRIM_400000_NS6detail17trampoline_kernelINS0_14default_configENS1_20scan_config_selectorIjEEZZNS1_9scan_implILNS1_25lookback_scan_determinismE0ELb1ELb1ES3_PjS8_jN6hipcub16HIPCUB_304000_NS3SumEjEEDaPvRmT3_T4_T5_mT6_P12ihipStream_tbENKUlT_T0_E_clISt17integral_constantIbLb0EESO_IbLb1EEEEDaSK_SL_EUlSK_E0_NS1_11comp_targetILNS1_3genE9ELNS1_11target_archE1100ELNS1_3gpuE3ELNS1_3repE0EEENS1_30default_config_static_selectorELNS0_4arch9wavefront6targetE0EEEvT1_,comdat
.Lfunc_end83:
	.size	_ZN7rocprim17ROCPRIM_400000_NS6detail17trampoline_kernelINS0_14default_configENS1_20scan_config_selectorIjEEZZNS1_9scan_implILNS1_25lookback_scan_determinismE0ELb1ELb1ES3_PjS8_jN6hipcub16HIPCUB_304000_NS3SumEjEEDaPvRmT3_T4_T5_mT6_P12ihipStream_tbENKUlT_T0_E_clISt17integral_constantIbLb0EESO_IbLb1EEEEDaSK_SL_EUlSK_E0_NS1_11comp_targetILNS1_3genE9ELNS1_11target_archE1100ELNS1_3gpuE3ELNS1_3repE0EEENS1_30default_config_static_selectorELNS0_4arch9wavefront6targetE0EEEvT1_, .Lfunc_end83-_ZN7rocprim17ROCPRIM_400000_NS6detail17trampoline_kernelINS0_14default_configENS1_20scan_config_selectorIjEEZZNS1_9scan_implILNS1_25lookback_scan_determinismE0ELb1ELb1ES3_PjS8_jN6hipcub16HIPCUB_304000_NS3SumEjEEDaPvRmT3_T4_T5_mT6_P12ihipStream_tbENKUlT_T0_E_clISt17integral_constantIbLb0EESO_IbLb1EEEEDaSK_SL_EUlSK_E0_NS1_11comp_targetILNS1_3genE9ELNS1_11target_archE1100ELNS1_3gpuE3ELNS1_3repE0EEENS1_30default_config_static_selectorELNS0_4arch9wavefront6targetE0EEEvT1_
                                        ; -- End function
	.set _ZN7rocprim17ROCPRIM_400000_NS6detail17trampoline_kernelINS0_14default_configENS1_20scan_config_selectorIjEEZZNS1_9scan_implILNS1_25lookback_scan_determinismE0ELb1ELb1ES3_PjS8_jN6hipcub16HIPCUB_304000_NS3SumEjEEDaPvRmT3_T4_T5_mT6_P12ihipStream_tbENKUlT_T0_E_clISt17integral_constantIbLb0EESO_IbLb1EEEEDaSK_SL_EUlSK_E0_NS1_11comp_targetILNS1_3genE9ELNS1_11target_archE1100ELNS1_3gpuE3ELNS1_3repE0EEENS1_30default_config_static_selectorELNS0_4arch9wavefront6targetE0EEEvT1_.num_vgpr, 0
	.set _ZN7rocprim17ROCPRIM_400000_NS6detail17trampoline_kernelINS0_14default_configENS1_20scan_config_selectorIjEEZZNS1_9scan_implILNS1_25lookback_scan_determinismE0ELb1ELb1ES3_PjS8_jN6hipcub16HIPCUB_304000_NS3SumEjEEDaPvRmT3_T4_T5_mT6_P12ihipStream_tbENKUlT_T0_E_clISt17integral_constantIbLb0EESO_IbLb1EEEEDaSK_SL_EUlSK_E0_NS1_11comp_targetILNS1_3genE9ELNS1_11target_archE1100ELNS1_3gpuE3ELNS1_3repE0EEENS1_30default_config_static_selectorELNS0_4arch9wavefront6targetE0EEEvT1_.num_agpr, 0
	.set _ZN7rocprim17ROCPRIM_400000_NS6detail17trampoline_kernelINS0_14default_configENS1_20scan_config_selectorIjEEZZNS1_9scan_implILNS1_25lookback_scan_determinismE0ELb1ELb1ES3_PjS8_jN6hipcub16HIPCUB_304000_NS3SumEjEEDaPvRmT3_T4_T5_mT6_P12ihipStream_tbENKUlT_T0_E_clISt17integral_constantIbLb0EESO_IbLb1EEEEDaSK_SL_EUlSK_E0_NS1_11comp_targetILNS1_3genE9ELNS1_11target_archE1100ELNS1_3gpuE3ELNS1_3repE0EEENS1_30default_config_static_selectorELNS0_4arch9wavefront6targetE0EEEvT1_.numbered_sgpr, 0
	.set _ZN7rocprim17ROCPRIM_400000_NS6detail17trampoline_kernelINS0_14default_configENS1_20scan_config_selectorIjEEZZNS1_9scan_implILNS1_25lookback_scan_determinismE0ELb1ELb1ES3_PjS8_jN6hipcub16HIPCUB_304000_NS3SumEjEEDaPvRmT3_T4_T5_mT6_P12ihipStream_tbENKUlT_T0_E_clISt17integral_constantIbLb0EESO_IbLb1EEEEDaSK_SL_EUlSK_E0_NS1_11comp_targetILNS1_3genE9ELNS1_11target_archE1100ELNS1_3gpuE3ELNS1_3repE0EEENS1_30default_config_static_selectorELNS0_4arch9wavefront6targetE0EEEvT1_.num_named_barrier, 0
	.set _ZN7rocprim17ROCPRIM_400000_NS6detail17trampoline_kernelINS0_14default_configENS1_20scan_config_selectorIjEEZZNS1_9scan_implILNS1_25lookback_scan_determinismE0ELb1ELb1ES3_PjS8_jN6hipcub16HIPCUB_304000_NS3SumEjEEDaPvRmT3_T4_T5_mT6_P12ihipStream_tbENKUlT_T0_E_clISt17integral_constantIbLb0EESO_IbLb1EEEEDaSK_SL_EUlSK_E0_NS1_11comp_targetILNS1_3genE9ELNS1_11target_archE1100ELNS1_3gpuE3ELNS1_3repE0EEENS1_30default_config_static_selectorELNS0_4arch9wavefront6targetE0EEEvT1_.private_seg_size, 0
	.set _ZN7rocprim17ROCPRIM_400000_NS6detail17trampoline_kernelINS0_14default_configENS1_20scan_config_selectorIjEEZZNS1_9scan_implILNS1_25lookback_scan_determinismE0ELb1ELb1ES3_PjS8_jN6hipcub16HIPCUB_304000_NS3SumEjEEDaPvRmT3_T4_T5_mT6_P12ihipStream_tbENKUlT_T0_E_clISt17integral_constantIbLb0EESO_IbLb1EEEEDaSK_SL_EUlSK_E0_NS1_11comp_targetILNS1_3genE9ELNS1_11target_archE1100ELNS1_3gpuE3ELNS1_3repE0EEENS1_30default_config_static_selectorELNS0_4arch9wavefront6targetE0EEEvT1_.uses_vcc, 0
	.set _ZN7rocprim17ROCPRIM_400000_NS6detail17trampoline_kernelINS0_14default_configENS1_20scan_config_selectorIjEEZZNS1_9scan_implILNS1_25lookback_scan_determinismE0ELb1ELb1ES3_PjS8_jN6hipcub16HIPCUB_304000_NS3SumEjEEDaPvRmT3_T4_T5_mT6_P12ihipStream_tbENKUlT_T0_E_clISt17integral_constantIbLb0EESO_IbLb1EEEEDaSK_SL_EUlSK_E0_NS1_11comp_targetILNS1_3genE9ELNS1_11target_archE1100ELNS1_3gpuE3ELNS1_3repE0EEENS1_30default_config_static_selectorELNS0_4arch9wavefront6targetE0EEEvT1_.uses_flat_scratch, 0
	.set _ZN7rocprim17ROCPRIM_400000_NS6detail17trampoline_kernelINS0_14default_configENS1_20scan_config_selectorIjEEZZNS1_9scan_implILNS1_25lookback_scan_determinismE0ELb1ELb1ES3_PjS8_jN6hipcub16HIPCUB_304000_NS3SumEjEEDaPvRmT3_T4_T5_mT6_P12ihipStream_tbENKUlT_T0_E_clISt17integral_constantIbLb0EESO_IbLb1EEEEDaSK_SL_EUlSK_E0_NS1_11comp_targetILNS1_3genE9ELNS1_11target_archE1100ELNS1_3gpuE3ELNS1_3repE0EEENS1_30default_config_static_selectorELNS0_4arch9wavefront6targetE0EEEvT1_.has_dyn_sized_stack, 0
	.set _ZN7rocprim17ROCPRIM_400000_NS6detail17trampoline_kernelINS0_14default_configENS1_20scan_config_selectorIjEEZZNS1_9scan_implILNS1_25lookback_scan_determinismE0ELb1ELb1ES3_PjS8_jN6hipcub16HIPCUB_304000_NS3SumEjEEDaPvRmT3_T4_T5_mT6_P12ihipStream_tbENKUlT_T0_E_clISt17integral_constantIbLb0EESO_IbLb1EEEEDaSK_SL_EUlSK_E0_NS1_11comp_targetILNS1_3genE9ELNS1_11target_archE1100ELNS1_3gpuE3ELNS1_3repE0EEENS1_30default_config_static_selectorELNS0_4arch9wavefront6targetE0EEEvT1_.has_recursion, 0
	.set _ZN7rocprim17ROCPRIM_400000_NS6detail17trampoline_kernelINS0_14default_configENS1_20scan_config_selectorIjEEZZNS1_9scan_implILNS1_25lookback_scan_determinismE0ELb1ELb1ES3_PjS8_jN6hipcub16HIPCUB_304000_NS3SumEjEEDaPvRmT3_T4_T5_mT6_P12ihipStream_tbENKUlT_T0_E_clISt17integral_constantIbLb0EESO_IbLb1EEEEDaSK_SL_EUlSK_E0_NS1_11comp_targetILNS1_3genE9ELNS1_11target_archE1100ELNS1_3gpuE3ELNS1_3repE0EEENS1_30default_config_static_selectorELNS0_4arch9wavefront6targetE0EEEvT1_.has_indirect_call, 0
	.section	.AMDGPU.csdata,"",@progbits
; Kernel info:
; codeLenInByte = 0
; TotalNumSgprs: 0
; NumVgprs: 0
; ScratchSize: 0
; MemoryBound: 0
; FloatMode: 240
; IeeeMode: 1
; LDSByteSize: 0 bytes/workgroup (compile time only)
; SGPRBlocks: 0
; VGPRBlocks: 0
; NumSGPRsForWavesPerEU: 1
; NumVGPRsForWavesPerEU: 1
; NamedBarCnt: 0
; Occupancy: 16
; WaveLimiterHint : 0
; COMPUTE_PGM_RSRC2:SCRATCH_EN: 0
; COMPUTE_PGM_RSRC2:USER_SGPR: 2
; COMPUTE_PGM_RSRC2:TRAP_HANDLER: 0
; COMPUTE_PGM_RSRC2:TGID_X_EN: 1
; COMPUTE_PGM_RSRC2:TGID_Y_EN: 0
; COMPUTE_PGM_RSRC2:TGID_Z_EN: 0
; COMPUTE_PGM_RSRC2:TIDIG_COMP_CNT: 0
	.section	.text._ZN7rocprim17ROCPRIM_400000_NS6detail17trampoline_kernelINS0_14default_configENS1_20scan_config_selectorIjEEZZNS1_9scan_implILNS1_25lookback_scan_determinismE0ELb1ELb1ES3_PjS8_jN6hipcub16HIPCUB_304000_NS3SumEjEEDaPvRmT3_T4_T5_mT6_P12ihipStream_tbENKUlT_T0_E_clISt17integral_constantIbLb0EESO_IbLb1EEEEDaSK_SL_EUlSK_E0_NS1_11comp_targetILNS1_3genE8ELNS1_11target_archE1030ELNS1_3gpuE2ELNS1_3repE0EEENS1_30default_config_static_selectorELNS0_4arch9wavefront6targetE0EEEvT1_,"axG",@progbits,_ZN7rocprim17ROCPRIM_400000_NS6detail17trampoline_kernelINS0_14default_configENS1_20scan_config_selectorIjEEZZNS1_9scan_implILNS1_25lookback_scan_determinismE0ELb1ELb1ES3_PjS8_jN6hipcub16HIPCUB_304000_NS3SumEjEEDaPvRmT3_T4_T5_mT6_P12ihipStream_tbENKUlT_T0_E_clISt17integral_constantIbLb0EESO_IbLb1EEEEDaSK_SL_EUlSK_E0_NS1_11comp_targetILNS1_3genE8ELNS1_11target_archE1030ELNS1_3gpuE2ELNS1_3repE0EEENS1_30default_config_static_selectorELNS0_4arch9wavefront6targetE0EEEvT1_,comdat
	.protected	_ZN7rocprim17ROCPRIM_400000_NS6detail17trampoline_kernelINS0_14default_configENS1_20scan_config_selectorIjEEZZNS1_9scan_implILNS1_25lookback_scan_determinismE0ELb1ELb1ES3_PjS8_jN6hipcub16HIPCUB_304000_NS3SumEjEEDaPvRmT3_T4_T5_mT6_P12ihipStream_tbENKUlT_T0_E_clISt17integral_constantIbLb0EESO_IbLb1EEEEDaSK_SL_EUlSK_E0_NS1_11comp_targetILNS1_3genE8ELNS1_11target_archE1030ELNS1_3gpuE2ELNS1_3repE0EEENS1_30default_config_static_selectorELNS0_4arch9wavefront6targetE0EEEvT1_ ; -- Begin function _ZN7rocprim17ROCPRIM_400000_NS6detail17trampoline_kernelINS0_14default_configENS1_20scan_config_selectorIjEEZZNS1_9scan_implILNS1_25lookback_scan_determinismE0ELb1ELb1ES3_PjS8_jN6hipcub16HIPCUB_304000_NS3SumEjEEDaPvRmT3_T4_T5_mT6_P12ihipStream_tbENKUlT_T0_E_clISt17integral_constantIbLb0EESO_IbLb1EEEEDaSK_SL_EUlSK_E0_NS1_11comp_targetILNS1_3genE8ELNS1_11target_archE1030ELNS1_3gpuE2ELNS1_3repE0EEENS1_30default_config_static_selectorELNS0_4arch9wavefront6targetE0EEEvT1_
	.globl	_ZN7rocprim17ROCPRIM_400000_NS6detail17trampoline_kernelINS0_14default_configENS1_20scan_config_selectorIjEEZZNS1_9scan_implILNS1_25lookback_scan_determinismE0ELb1ELb1ES3_PjS8_jN6hipcub16HIPCUB_304000_NS3SumEjEEDaPvRmT3_T4_T5_mT6_P12ihipStream_tbENKUlT_T0_E_clISt17integral_constantIbLb0EESO_IbLb1EEEEDaSK_SL_EUlSK_E0_NS1_11comp_targetILNS1_3genE8ELNS1_11target_archE1030ELNS1_3gpuE2ELNS1_3repE0EEENS1_30default_config_static_selectorELNS0_4arch9wavefront6targetE0EEEvT1_
	.p2align	8
	.type	_ZN7rocprim17ROCPRIM_400000_NS6detail17trampoline_kernelINS0_14default_configENS1_20scan_config_selectorIjEEZZNS1_9scan_implILNS1_25lookback_scan_determinismE0ELb1ELb1ES3_PjS8_jN6hipcub16HIPCUB_304000_NS3SumEjEEDaPvRmT3_T4_T5_mT6_P12ihipStream_tbENKUlT_T0_E_clISt17integral_constantIbLb0EESO_IbLb1EEEEDaSK_SL_EUlSK_E0_NS1_11comp_targetILNS1_3genE8ELNS1_11target_archE1030ELNS1_3gpuE2ELNS1_3repE0EEENS1_30default_config_static_selectorELNS0_4arch9wavefront6targetE0EEEvT1_,@function
_ZN7rocprim17ROCPRIM_400000_NS6detail17trampoline_kernelINS0_14default_configENS1_20scan_config_selectorIjEEZZNS1_9scan_implILNS1_25lookback_scan_determinismE0ELb1ELb1ES3_PjS8_jN6hipcub16HIPCUB_304000_NS3SumEjEEDaPvRmT3_T4_T5_mT6_P12ihipStream_tbENKUlT_T0_E_clISt17integral_constantIbLb0EESO_IbLb1EEEEDaSK_SL_EUlSK_E0_NS1_11comp_targetILNS1_3genE8ELNS1_11target_archE1030ELNS1_3gpuE2ELNS1_3repE0EEENS1_30default_config_static_selectorELNS0_4arch9wavefront6targetE0EEEvT1_: ; @_ZN7rocprim17ROCPRIM_400000_NS6detail17trampoline_kernelINS0_14default_configENS1_20scan_config_selectorIjEEZZNS1_9scan_implILNS1_25lookback_scan_determinismE0ELb1ELb1ES3_PjS8_jN6hipcub16HIPCUB_304000_NS3SumEjEEDaPvRmT3_T4_T5_mT6_P12ihipStream_tbENKUlT_T0_E_clISt17integral_constantIbLb0EESO_IbLb1EEEEDaSK_SL_EUlSK_E0_NS1_11comp_targetILNS1_3genE8ELNS1_11target_archE1030ELNS1_3gpuE2ELNS1_3repE0EEENS1_30default_config_static_selectorELNS0_4arch9wavefront6targetE0EEEvT1_
; %bb.0:
	.section	.rodata,"a",@progbits
	.p2align	6, 0x0
	.amdhsa_kernel _ZN7rocprim17ROCPRIM_400000_NS6detail17trampoline_kernelINS0_14default_configENS1_20scan_config_selectorIjEEZZNS1_9scan_implILNS1_25lookback_scan_determinismE0ELb1ELb1ES3_PjS8_jN6hipcub16HIPCUB_304000_NS3SumEjEEDaPvRmT3_T4_T5_mT6_P12ihipStream_tbENKUlT_T0_E_clISt17integral_constantIbLb0EESO_IbLb1EEEEDaSK_SL_EUlSK_E0_NS1_11comp_targetILNS1_3genE8ELNS1_11target_archE1030ELNS1_3gpuE2ELNS1_3repE0EEENS1_30default_config_static_selectorELNS0_4arch9wavefront6targetE0EEEvT1_
		.amdhsa_group_segment_fixed_size 0
		.amdhsa_private_segment_fixed_size 0
		.amdhsa_kernarg_size 32
		.amdhsa_user_sgpr_count 2
		.amdhsa_user_sgpr_dispatch_ptr 0
		.amdhsa_user_sgpr_queue_ptr 0
		.amdhsa_user_sgpr_kernarg_segment_ptr 1
		.amdhsa_user_sgpr_dispatch_id 0
		.amdhsa_user_sgpr_kernarg_preload_length 0
		.amdhsa_user_sgpr_kernarg_preload_offset 0
		.amdhsa_user_sgpr_private_segment_size 0
		.amdhsa_wavefront_size32 1
		.amdhsa_uses_dynamic_stack 0
		.amdhsa_enable_private_segment 0
		.amdhsa_system_sgpr_workgroup_id_x 1
		.amdhsa_system_sgpr_workgroup_id_y 0
		.amdhsa_system_sgpr_workgroup_id_z 0
		.amdhsa_system_sgpr_workgroup_info 0
		.amdhsa_system_vgpr_workitem_id 0
		.amdhsa_next_free_vgpr 1
		.amdhsa_next_free_sgpr 1
		.amdhsa_named_barrier_count 0
		.amdhsa_reserve_vcc 0
		.amdhsa_float_round_mode_32 0
		.amdhsa_float_round_mode_16_64 0
		.amdhsa_float_denorm_mode_32 3
		.amdhsa_float_denorm_mode_16_64 3
		.amdhsa_fp16_overflow 0
		.amdhsa_memory_ordered 1
		.amdhsa_forward_progress 1
		.amdhsa_inst_pref_size 0
		.amdhsa_round_robin_scheduling 0
		.amdhsa_exception_fp_ieee_invalid_op 0
		.amdhsa_exception_fp_denorm_src 0
		.amdhsa_exception_fp_ieee_div_zero 0
		.amdhsa_exception_fp_ieee_overflow 0
		.amdhsa_exception_fp_ieee_underflow 0
		.amdhsa_exception_fp_ieee_inexact 0
		.amdhsa_exception_int_div_zero 0
	.end_amdhsa_kernel
	.section	.text._ZN7rocprim17ROCPRIM_400000_NS6detail17trampoline_kernelINS0_14default_configENS1_20scan_config_selectorIjEEZZNS1_9scan_implILNS1_25lookback_scan_determinismE0ELb1ELb1ES3_PjS8_jN6hipcub16HIPCUB_304000_NS3SumEjEEDaPvRmT3_T4_T5_mT6_P12ihipStream_tbENKUlT_T0_E_clISt17integral_constantIbLb0EESO_IbLb1EEEEDaSK_SL_EUlSK_E0_NS1_11comp_targetILNS1_3genE8ELNS1_11target_archE1030ELNS1_3gpuE2ELNS1_3repE0EEENS1_30default_config_static_selectorELNS0_4arch9wavefront6targetE0EEEvT1_,"axG",@progbits,_ZN7rocprim17ROCPRIM_400000_NS6detail17trampoline_kernelINS0_14default_configENS1_20scan_config_selectorIjEEZZNS1_9scan_implILNS1_25lookback_scan_determinismE0ELb1ELb1ES3_PjS8_jN6hipcub16HIPCUB_304000_NS3SumEjEEDaPvRmT3_T4_T5_mT6_P12ihipStream_tbENKUlT_T0_E_clISt17integral_constantIbLb0EESO_IbLb1EEEEDaSK_SL_EUlSK_E0_NS1_11comp_targetILNS1_3genE8ELNS1_11target_archE1030ELNS1_3gpuE2ELNS1_3repE0EEENS1_30default_config_static_selectorELNS0_4arch9wavefront6targetE0EEEvT1_,comdat
.Lfunc_end84:
	.size	_ZN7rocprim17ROCPRIM_400000_NS6detail17trampoline_kernelINS0_14default_configENS1_20scan_config_selectorIjEEZZNS1_9scan_implILNS1_25lookback_scan_determinismE0ELb1ELb1ES3_PjS8_jN6hipcub16HIPCUB_304000_NS3SumEjEEDaPvRmT3_T4_T5_mT6_P12ihipStream_tbENKUlT_T0_E_clISt17integral_constantIbLb0EESO_IbLb1EEEEDaSK_SL_EUlSK_E0_NS1_11comp_targetILNS1_3genE8ELNS1_11target_archE1030ELNS1_3gpuE2ELNS1_3repE0EEENS1_30default_config_static_selectorELNS0_4arch9wavefront6targetE0EEEvT1_, .Lfunc_end84-_ZN7rocprim17ROCPRIM_400000_NS6detail17trampoline_kernelINS0_14default_configENS1_20scan_config_selectorIjEEZZNS1_9scan_implILNS1_25lookback_scan_determinismE0ELb1ELb1ES3_PjS8_jN6hipcub16HIPCUB_304000_NS3SumEjEEDaPvRmT3_T4_T5_mT6_P12ihipStream_tbENKUlT_T0_E_clISt17integral_constantIbLb0EESO_IbLb1EEEEDaSK_SL_EUlSK_E0_NS1_11comp_targetILNS1_3genE8ELNS1_11target_archE1030ELNS1_3gpuE2ELNS1_3repE0EEENS1_30default_config_static_selectorELNS0_4arch9wavefront6targetE0EEEvT1_
                                        ; -- End function
	.set _ZN7rocprim17ROCPRIM_400000_NS6detail17trampoline_kernelINS0_14default_configENS1_20scan_config_selectorIjEEZZNS1_9scan_implILNS1_25lookback_scan_determinismE0ELb1ELb1ES3_PjS8_jN6hipcub16HIPCUB_304000_NS3SumEjEEDaPvRmT3_T4_T5_mT6_P12ihipStream_tbENKUlT_T0_E_clISt17integral_constantIbLb0EESO_IbLb1EEEEDaSK_SL_EUlSK_E0_NS1_11comp_targetILNS1_3genE8ELNS1_11target_archE1030ELNS1_3gpuE2ELNS1_3repE0EEENS1_30default_config_static_selectorELNS0_4arch9wavefront6targetE0EEEvT1_.num_vgpr, 0
	.set _ZN7rocprim17ROCPRIM_400000_NS6detail17trampoline_kernelINS0_14default_configENS1_20scan_config_selectorIjEEZZNS1_9scan_implILNS1_25lookback_scan_determinismE0ELb1ELb1ES3_PjS8_jN6hipcub16HIPCUB_304000_NS3SumEjEEDaPvRmT3_T4_T5_mT6_P12ihipStream_tbENKUlT_T0_E_clISt17integral_constantIbLb0EESO_IbLb1EEEEDaSK_SL_EUlSK_E0_NS1_11comp_targetILNS1_3genE8ELNS1_11target_archE1030ELNS1_3gpuE2ELNS1_3repE0EEENS1_30default_config_static_selectorELNS0_4arch9wavefront6targetE0EEEvT1_.num_agpr, 0
	.set _ZN7rocprim17ROCPRIM_400000_NS6detail17trampoline_kernelINS0_14default_configENS1_20scan_config_selectorIjEEZZNS1_9scan_implILNS1_25lookback_scan_determinismE0ELb1ELb1ES3_PjS8_jN6hipcub16HIPCUB_304000_NS3SumEjEEDaPvRmT3_T4_T5_mT6_P12ihipStream_tbENKUlT_T0_E_clISt17integral_constantIbLb0EESO_IbLb1EEEEDaSK_SL_EUlSK_E0_NS1_11comp_targetILNS1_3genE8ELNS1_11target_archE1030ELNS1_3gpuE2ELNS1_3repE0EEENS1_30default_config_static_selectorELNS0_4arch9wavefront6targetE0EEEvT1_.numbered_sgpr, 0
	.set _ZN7rocprim17ROCPRIM_400000_NS6detail17trampoline_kernelINS0_14default_configENS1_20scan_config_selectorIjEEZZNS1_9scan_implILNS1_25lookback_scan_determinismE0ELb1ELb1ES3_PjS8_jN6hipcub16HIPCUB_304000_NS3SumEjEEDaPvRmT3_T4_T5_mT6_P12ihipStream_tbENKUlT_T0_E_clISt17integral_constantIbLb0EESO_IbLb1EEEEDaSK_SL_EUlSK_E0_NS1_11comp_targetILNS1_3genE8ELNS1_11target_archE1030ELNS1_3gpuE2ELNS1_3repE0EEENS1_30default_config_static_selectorELNS0_4arch9wavefront6targetE0EEEvT1_.num_named_barrier, 0
	.set _ZN7rocprim17ROCPRIM_400000_NS6detail17trampoline_kernelINS0_14default_configENS1_20scan_config_selectorIjEEZZNS1_9scan_implILNS1_25lookback_scan_determinismE0ELb1ELb1ES3_PjS8_jN6hipcub16HIPCUB_304000_NS3SumEjEEDaPvRmT3_T4_T5_mT6_P12ihipStream_tbENKUlT_T0_E_clISt17integral_constantIbLb0EESO_IbLb1EEEEDaSK_SL_EUlSK_E0_NS1_11comp_targetILNS1_3genE8ELNS1_11target_archE1030ELNS1_3gpuE2ELNS1_3repE0EEENS1_30default_config_static_selectorELNS0_4arch9wavefront6targetE0EEEvT1_.private_seg_size, 0
	.set _ZN7rocprim17ROCPRIM_400000_NS6detail17trampoline_kernelINS0_14default_configENS1_20scan_config_selectorIjEEZZNS1_9scan_implILNS1_25lookback_scan_determinismE0ELb1ELb1ES3_PjS8_jN6hipcub16HIPCUB_304000_NS3SumEjEEDaPvRmT3_T4_T5_mT6_P12ihipStream_tbENKUlT_T0_E_clISt17integral_constantIbLb0EESO_IbLb1EEEEDaSK_SL_EUlSK_E0_NS1_11comp_targetILNS1_3genE8ELNS1_11target_archE1030ELNS1_3gpuE2ELNS1_3repE0EEENS1_30default_config_static_selectorELNS0_4arch9wavefront6targetE0EEEvT1_.uses_vcc, 0
	.set _ZN7rocprim17ROCPRIM_400000_NS6detail17trampoline_kernelINS0_14default_configENS1_20scan_config_selectorIjEEZZNS1_9scan_implILNS1_25lookback_scan_determinismE0ELb1ELb1ES3_PjS8_jN6hipcub16HIPCUB_304000_NS3SumEjEEDaPvRmT3_T4_T5_mT6_P12ihipStream_tbENKUlT_T0_E_clISt17integral_constantIbLb0EESO_IbLb1EEEEDaSK_SL_EUlSK_E0_NS1_11comp_targetILNS1_3genE8ELNS1_11target_archE1030ELNS1_3gpuE2ELNS1_3repE0EEENS1_30default_config_static_selectorELNS0_4arch9wavefront6targetE0EEEvT1_.uses_flat_scratch, 0
	.set _ZN7rocprim17ROCPRIM_400000_NS6detail17trampoline_kernelINS0_14default_configENS1_20scan_config_selectorIjEEZZNS1_9scan_implILNS1_25lookback_scan_determinismE0ELb1ELb1ES3_PjS8_jN6hipcub16HIPCUB_304000_NS3SumEjEEDaPvRmT3_T4_T5_mT6_P12ihipStream_tbENKUlT_T0_E_clISt17integral_constantIbLb0EESO_IbLb1EEEEDaSK_SL_EUlSK_E0_NS1_11comp_targetILNS1_3genE8ELNS1_11target_archE1030ELNS1_3gpuE2ELNS1_3repE0EEENS1_30default_config_static_selectorELNS0_4arch9wavefront6targetE0EEEvT1_.has_dyn_sized_stack, 0
	.set _ZN7rocprim17ROCPRIM_400000_NS6detail17trampoline_kernelINS0_14default_configENS1_20scan_config_selectorIjEEZZNS1_9scan_implILNS1_25lookback_scan_determinismE0ELb1ELb1ES3_PjS8_jN6hipcub16HIPCUB_304000_NS3SumEjEEDaPvRmT3_T4_T5_mT6_P12ihipStream_tbENKUlT_T0_E_clISt17integral_constantIbLb0EESO_IbLb1EEEEDaSK_SL_EUlSK_E0_NS1_11comp_targetILNS1_3genE8ELNS1_11target_archE1030ELNS1_3gpuE2ELNS1_3repE0EEENS1_30default_config_static_selectorELNS0_4arch9wavefront6targetE0EEEvT1_.has_recursion, 0
	.set _ZN7rocprim17ROCPRIM_400000_NS6detail17trampoline_kernelINS0_14default_configENS1_20scan_config_selectorIjEEZZNS1_9scan_implILNS1_25lookback_scan_determinismE0ELb1ELb1ES3_PjS8_jN6hipcub16HIPCUB_304000_NS3SumEjEEDaPvRmT3_T4_T5_mT6_P12ihipStream_tbENKUlT_T0_E_clISt17integral_constantIbLb0EESO_IbLb1EEEEDaSK_SL_EUlSK_E0_NS1_11comp_targetILNS1_3genE8ELNS1_11target_archE1030ELNS1_3gpuE2ELNS1_3repE0EEENS1_30default_config_static_selectorELNS0_4arch9wavefront6targetE0EEEvT1_.has_indirect_call, 0
	.section	.AMDGPU.csdata,"",@progbits
; Kernel info:
; codeLenInByte = 0
; TotalNumSgprs: 0
; NumVgprs: 0
; ScratchSize: 0
; MemoryBound: 0
; FloatMode: 240
; IeeeMode: 1
; LDSByteSize: 0 bytes/workgroup (compile time only)
; SGPRBlocks: 0
; VGPRBlocks: 0
; NumSGPRsForWavesPerEU: 1
; NumVGPRsForWavesPerEU: 1
; NamedBarCnt: 0
; Occupancy: 16
; WaveLimiterHint : 0
; COMPUTE_PGM_RSRC2:SCRATCH_EN: 0
; COMPUTE_PGM_RSRC2:USER_SGPR: 2
; COMPUTE_PGM_RSRC2:TRAP_HANDLER: 0
; COMPUTE_PGM_RSRC2:TGID_X_EN: 1
; COMPUTE_PGM_RSRC2:TGID_Y_EN: 0
; COMPUTE_PGM_RSRC2:TGID_Z_EN: 0
; COMPUTE_PGM_RSRC2:TIDIG_COMP_CNT: 0
	.section	.text._Z17compressKernelIIIIjEvjPKjS1_PKhS3_PhS4_,"axG",@progbits,_Z17compressKernelIIIIjEvjPKjS1_PKhS3_PhS4_,comdat
	.protected	_Z17compressKernelIIIIjEvjPKjS1_PKhS3_PhS4_ ; -- Begin function _Z17compressKernelIIIIjEvjPKjS1_PKhS3_PhS4_
	.globl	_Z17compressKernelIIIIjEvjPKjS1_PKhS3_PhS4_
	.p2align	8
	.type	_Z17compressKernelIIIIjEvjPKjS1_PKhS3_PhS4_,@function
_Z17compressKernelIIIIjEvjPKjS1_PKhS3_PhS4_: ; @_Z17compressKernelIIIIjEvjPKjS1_PKhS3_PhS4_
; %bb.0:
	s_load_b128 s[8:11], s[0:1], 0x8
	s_bfe_u32 s2, ttmp6, 0x4000c
	s_and_b32 s3, ttmp6, 15
	s_add_co_i32 s2, s2, 1
	s_getreg_b32 s4, hwreg(HW_REG_IB_STS2, 6, 4)
	s_mul_i32 s2, ttmp9, s2
	s_mov_b32 s15, exec_lo
	s_add_co_i32 s3, s3, s2
	s_cmp_eq_u32 s4, 0
	s_cselect_b32 s4, ttmp9, s3
	s_delay_alu instid0(SALU_CYCLE_1) | instskip(NEXT) | instid1(SALU_CYCLE_1)
	s_ashr_i32 s5, s4, 31
	s_lshl_b64 s[2:3], s[4:5], 2
	s_wait_kmcnt 0x0
	s_add_nc_u64 s[8:9], s[8:9], s[2:3]
	s_load_b64 s[6:7], s[8:9], 0x0
	s_wait_xcnt 0x0
	s_add_nc_u64 s[8:9], s[10:11], s[2:3]
	s_load_b64 s[2:3], s[8:9], 0x0
	s_wait_kmcnt 0x0
	s_sub_co_i32 s14, s7, s6
	s_delay_alu instid0(SALU_CYCLE_1)
	v_cmpx_gt_i32_e64 s14, v0
	s_cbranch_execz .LBB85_8
; %bb.1:
	s_clause 0x1
	s_load_b64 s[8:9], s[0:1], 0x18
	s_load_b64 s[10:11], s[0:1], 0x28
	v_xad_u32 v1, v0, -1, s7
	v_mov_b32_e32 v2, v0
	s_lshl_b32 s12, s4, 6
	s_mov_b32 s13, -1
	s_mov_b32 s7, exec_lo
	v_subrev_nc_u32_e32 v1, s6, v1
	s_delay_alu instid0(VALU_DEP_1)
	v_cmpx_lt_u32_e32 0x37f, v1
	s_cbranch_execz .LBB85_5
; %bb.2:
	v_lshrrev_b32_e32 v1, 7, v1
	v_add_nc_u32_e32 v7, 0x380, v0
	v_add_nc_u32_e32 v6, 0x300, v0
	;; [unrolled: 1-line block ×8, first 2 shown]
	v_mov_b64_e32 v[8:9], v[6:7]
	v_and_b32_e32 v11, 0x3fffff8, v10
	v_mov_b64_e32 v[6:7], v[4:5]
	s_delay_alu instid0(VALU_DEP_4)
	v_mov_b64_e32 v[4:5], v[2:3]
	v_mov_b64_e32 v[2:3], v[0:1]
	s_mov_b32 s13, s12
	v_mov_b32_e32 v12, v11
	s_mov_b32 s16, s12
	s_mov_b32 s17, s12
	;; [unrolled: 1-line block ×14, first 2 shown]
.LBB85_3:                               ; =>This Inner Loop Header: Depth=1
	v_dual_add_nc_u32 v14, s19, v7 :: v_dual_add_nc_u32 v15, s12, v2
	v_dual_add_nc_u32 v16, s13, v3 :: v_dual_add_nc_u32 v17, s16, v4
	;; [unrolled: 1-line block ×4, first 2 shown]
	s_wait_kmcnt 0x0
	s_clause 0x7
	global_load_u8 v20, v15, s[8:9]
	global_load_u8 v21, v16, s[8:9]
	;; [unrolled: 1-line block ×8, first 2 shown]
	s_wait_xcnt 0x0
	v_dual_add_nc_u32 v12, -8, v12 :: v_dual_add_nc_u32 v1, s29, v9
	v_dual_add_nc_u32 v13, s27, v8 :: v_dual_add_nc_u32 v14, s26, v7
	v_add_nc_u32_e32 v15, s25, v6
	s_delay_alu instid0(VALU_DEP_3)
	v_cmp_eq_u32_e32 vcc_lo, 0, v12
	v_dual_add_nc_u32 v16, s24, v5 :: v_dual_add_nc_u32 v17, s23, v4
	v_dual_add_nc_u32 v18, s22, v3 :: v_dual_add_nc_u32 v19, s6, v2
	v_add_nc_u32_e32 v9, 0x400, v9
	v_add_nc_u32_e32 v8, 0x400, v8
	;; [unrolled: 1-line block ×8, first 2 shown]
	s_or_b32 s28, vcc_lo, s28
	s_wait_loadcnt 0x7
	global_store_b8 v19, v20, s[10:11]
	s_wait_loadcnt 0x6
	global_store_b8 v18, v21, s[10:11]
	;; [unrolled: 2-line block ×8, first 2 shown]
	s_wait_xcnt 0x0
	s_and_not1_b32 exec_lo, exec_lo, s28
	s_cbranch_execnz .LBB85_3
; %bb.4:
	s_or_b32 exec_lo, exec_lo, s28
	v_cmp_ne_u32_e32 vcc_lo, v10, v11
	v_lshl_or_b32 v2, v11, 7, v0
	s_or_not1_b32 s13, vcc_lo, exec_lo
.LBB85_5:
	s_or_b32 exec_lo, exec_lo, s7
	s_delay_alu instid0(SALU_CYCLE_1)
	s_and_b32 exec_lo, exec_lo, s13
	s_cbranch_execz .LBB85_8
; %bb.6:
	v_ashrrev_i32_e32 v3, 31, v2
	s_ashr_i32 s7, s6, 31
	s_ashr_i32 s13, s12, 31
	s_wait_kmcnt 0x0
	s_add_nc_u64 s[6:7], s[10:11], s[6:7]
	s_add_nc_u64 s[8:9], s[8:9], s[12:13]
	v_add_nc_u64_e32 v[4:5], s[6:7], v[2:3]
	v_add_nc_u64_e32 v[6:7], s[8:9], v[2:3]
	s_mov_b32 s6, 0
.LBB85_7:                               ; =>This Inner Loop Header: Depth=1
	global_load_u8 v1, v[6:7], off
	v_add_nc_u32_e32 v2, 0x80, v2
	s_wait_xcnt 0x0
	v_add_nc_u64_e32 v[6:7], 0x80, v[6:7]
	s_delay_alu instid0(VALU_DEP_2)
	v_cmp_le_i32_e32 vcc_lo, s14, v2
	s_or_b32 s6, vcc_lo, s6
	s_wait_loadcnt 0x0
	global_store_b8 v[4:5], v1, off
	s_wait_xcnt 0x0
	v_add_nc_u64_e32 v[4:5], 0x80, v[4:5]
	s_and_not1_b32 exec_lo, exec_lo, s6
	s_cbranch_execnz .LBB85_7
.LBB85_8:
	s_or_b32 exec_lo, exec_lo, s15
	s_wait_kmcnt 0x0
	s_sub_co_i32 s8, s3, s2
	s_mov_b32 s6, exec_lo
	v_cmpx_gt_i32_e64 s8, v0
	s_cbranch_execz .LBB85_16
; %bb.9:
	s_clause 0x1
	s_load_b64 s[10:11], s[0:1], 0x20
	s_load_b64 s[6:7], s[0:1], 0x30
	v_xad_u32 v1, v0, -1, s3
	s_wait_xcnt 0x0
	s_lshl_b64 s[0:1], s[4:5], 11
	s_mov_b32 s4, -1
	s_mov_b32 s3, exec_lo
	v_subrev_nc_u32_e32 v1, s2, v1
	s_wait_kmcnt 0x0
	s_add_nc_u64 s[0:1], s[10:11], s[0:1]
	s_delay_alu instid0(VALU_DEP_1)
	v_cmpx_lt_u32_e32 0x37f, v1
	s_cbranch_execz .LBB85_13
; %bb.10:
	v_dual_lshrrev_b32 v1, 7, v1 :: v_dual_mov_b32 v11, 0
	v_add_nc_u32_e32 v6, 0x300, v0
	v_add_nc_u32_e32 v5, 0x280, v0
	;; [unrolled: 1-line block ×3, first 2 shown]
	s_delay_alu instid0(VALU_DEP_4)
	v_add_nc_u32_e32 v12, 1, v1
	v_add_nc_u32_e32 v1, 0x80, v0
	;; [unrolled: 1-line block ×4, first 2 shown]
	s_mov_b32 s4, s2
	v_and_b32_e32 v13, 0x3fffff8, v12
	v_add_nc_u32_e32 v7, 0x380, v0
	s_mov_b32 s5, s2
	s_mov_b32 s9, s2
	;; [unrolled: 1-line block ×3, first 2 shown]
	v_mov_b32_e32 v14, v13
	v_mov_b64_e32 v[8:9], v[6:7]
	v_mov_b64_e32 v[6:7], v[4:5]
	;; [unrolled: 1-line block ×4, first 2 shown]
	s_mov_b32 s11, s2
	s_mov_b32 s12, s2
	;; [unrolled: 1-line block ×4, first 2 shown]
.LBB85_11:                              ; =>This Inner Loop Header: Depth=1
	s_delay_alu instid0(VALU_DEP_1) | instskip(NEXT) | instid1(VALU_DEP_1)
	v_dual_mov_b32 v10, v2 :: v_dual_add_nc_u32 v14, -8, v14
	v_add_nc_u64_e32 v[16:17], s[0:1], v[10:11]
	v_mov_b32_e32 v10, v3
	s_delay_alu instid0(VALU_DEP_3) | instskip(NEXT) | instid1(VALU_DEP_2)
	v_cmp_eq_u32_e32 vcc_lo, 0, v14
	v_add_nc_u64_e32 v[18:19], s[0:1], v[10:11]
	v_mov_b32_e32 v10, v4
	global_load_u8 v1, v[16:17], off
	s_or_b32 s13, vcc_lo, s13
	v_add_nc_u64_e32 v[20:21], s[0:1], v[10:11]
	v_mov_b32_e32 v10, v5
	s_delay_alu instid0(VALU_DEP_1) | instskip(SKIP_1) | instid1(VALU_DEP_1)
	v_add_nc_u64_e32 v[22:23], s[0:1], v[10:11]
	v_mov_b32_e32 v10, v6
	v_add_nc_u64_e32 v[24:25], s[0:1], v[10:11]
	v_mov_b32_e32 v10, v7
	s_delay_alu instid0(VALU_DEP_1) | instskip(SKIP_1) | instid1(VALU_DEP_1)
	v_add_nc_u64_e32 v[26:27], s[0:1], v[10:11]
	v_mov_b32_e32 v10, v8
	v_add_nc_u64_e32 v[28:29], s[0:1], v[10:11]
	v_mov_b32_e32 v10, v9
	s_wait_xcnt 0x0
	s_delay_alu instid0(VALU_DEP_1)
	v_add_nc_u64_e32 v[16:17], s[0:1], v[10:11]
	s_clause 0x6
	global_load_u8 v10, v[18:19], off
	global_load_u8 v15, v[20:21], off
	;; [unrolled: 1-line block ×7, first 2 shown]
	s_wait_xcnt 0x0
	v_dual_add_nc_u32 v16, s14, v9 :: v_dual_add_nc_u32 v17, s12, v8
	v_dual_add_nc_u32 v18, s11, v7 :: v_dual_add_nc_u32 v19, s10, v6
	;; [unrolled: 1-line block ×4, first 2 shown]
	v_add_nc_u32_e32 v2, 0x400, v2
	v_add_nc_u32_e32 v3, 0x400, v3
	;; [unrolled: 1-line block ×8, first 2 shown]
	s_wait_loadcnt 0x7
	global_store_b8 v23, v1, s[6:7]
	s_wait_loadcnt 0x6
	global_store_b8 v22, v10, s[6:7]
	;; [unrolled: 2-line block ×8, first 2 shown]
	s_wait_xcnt 0x0
	s_and_not1_b32 exec_lo, exec_lo, s13
	s_cbranch_execnz .LBB85_11
; %bb.12:
	s_or_b32 exec_lo, exec_lo, s13
	v_cmp_ne_u32_e32 vcc_lo, v12, v13
	v_lshl_or_b32 v0, v13, 7, v0
	s_or_not1_b32 s4, vcc_lo, exec_lo
.LBB85_13:
	s_or_b32 exec_lo, exec_lo, s3
	s_delay_alu instid0(SALU_CYCLE_1)
	s_and_b32 exec_lo, exec_lo, s4
	s_cbranch_execz .LBB85_16
; %bb.14:
	v_dual_mov_b32 v2, v0 :: v_dual_ashrrev_i32 v3, 31, v0
	s_ashr_i32 s3, s2, 31
	v_mov_b32_e32 v1, 0
	s_add_nc_u64 s[2:3], s[6:7], s[2:3]
	s_delay_alu instid0(VALU_DEP_2) | instid1(SALU_CYCLE_1)
	v_add_nc_u64_e32 v[2:3], s[2:3], v[2:3]
	s_mov_b32 s2, 0
.LBB85_15:                              ; =>This Inner Loop Header: Depth=1
	s_delay_alu instid0(VALU_DEP_2)
	v_add_nc_u64_e32 v[4:5], s[0:1], v[0:1]
	v_add_nc_u64_e32 v[0:1], 0x80, v[0:1]
	global_load_u8 v4, v[4:5], off
	v_cmp_le_i32_e32 vcc_lo, s8, v0
	s_or_b32 s2, vcc_lo, s2
	s_wait_loadcnt 0x0
	global_store_b8 v[2:3], v4, off
	s_wait_xcnt 0x0
	v_add_nc_u64_e32 v[2:3], 0x80, v[2:3]
	s_and_not1_b32 exec_lo, exec_lo, s2
	s_cbranch_execnz .LBB85_15
.LBB85_16:
	s_endpgm
	.section	.rodata,"a",@progbits
	.p2align	6, 0x0
	.amdhsa_kernel _Z17compressKernelIIIIjEvjPKjS1_PKhS3_PhS4_
		.amdhsa_group_segment_fixed_size 0
		.amdhsa_private_segment_fixed_size 0
		.amdhsa_kernarg_size 56
		.amdhsa_user_sgpr_count 2
		.amdhsa_user_sgpr_dispatch_ptr 0
		.amdhsa_user_sgpr_queue_ptr 0
		.amdhsa_user_sgpr_kernarg_segment_ptr 1
		.amdhsa_user_sgpr_dispatch_id 0
		.amdhsa_user_sgpr_kernarg_preload_length 0
		.amdhsa_user_sgpr_kernarg_preload_offset 0
		.amdhsa_user_sgpr_private_segment_size 0
		.amdhsa_wavefront_size32 1
		.amdhsa_uses_dynamic_stack 0
		.amdhsa_enable_private_segment 0
		.amdhsa_system_sgpr_workgroup_id_x 1
		.amdhsa_system_sgpr_workgroup_id_y 0
		.amdhsa_system_sgpr_workgroup_id_z 0
		.amdhsa_system_sgpr_workgroup_info 0
		.amdhsa_system_vgpr_workitem_id 0
		.amdhsa_next_free_vgpr 35
		.amdhsa_next_free_sgpr 30
		.amdhsa_named_barrier_count 0
		.amdhsa_reserve_vcc 1
		.amdhsa_float_round_mode_32 0
		.amdhsa_float_round_mode_16_64 0
		.amdhsa_float_denorm_mode_32 3
		.amdhsa_float_denorm_mode_16_64 3
		.amdhsa_fp16_overflow 0
		.amdhsa_memory_ordered 1
		.amdhsa_forward_progress 1
		.amdhsa_inst_pref_size 14
		.amdhsa_round_robin_scheduling 0
		.amdhsa_exception_fp_ieee_invalid_op 0
		.amdhsa_exception_fp_denorm_src 0
		.amdhsa_exception_fp_ieee_div_zero 0
		.amdhsa_exception_fp_ieee_overflow 0
		.amdhsa_exception_fp_ieee_underflow 0
		.amdhsa_exception_fp_ieee_inexact 0
		.amdhsa_exception_int_div_zero 0
	.end_amdhsa_kernel
	.section	.text._Z17compressKernelIIIIjEvjPKjS1_PKhS3_PhS4_,"axG",@progbits,_Z17compressKernelIIIIjEvjPKjS1_PKhS3_PhS4_,comdat
.Lfunc_end85:
	.size	_Z17compressKernelIIIIjEvjPKjS1_PKhS3_PhS4_, .Lfunc_end85-_Z17compressKernelIIIIjEvjPKjS1_PKhS3_PhS4_
                                        ; -- End function
	.set _Z17compressKernelIIIIjEvjPKjS1_PKhS3_PhS4_.num_vgpr, 35
	.set _Z17compressKernelIIIIjEvjPKjS1_PKhS3_PhS4_.num_agpr, 0
	.set _Z17compressKernelIIIIjEvjPKjS1_PKhS3_PhS4_.numbered_sgpr, 30
	.set _Z17compressKernelIIIIjEvjPKjS1_PKhS3_PhS4_.num_named_barrier, 0
	.set _Z17compressKernelIIIIjEvjPKjS1_PKhS3_PhS4_.private_seg_size, 0
	.set _Z17compressKernelIIIIjEvjPKjS1_PKhS3_PhS4_.uses_vcc, 1
	.set _Z17compressKernelIIIIjEvjPKjS1_PKhS3_PhS4_.uses_flat_scratch, 0
	.set _Z17compressKernelIIIIjEvjPKjS1_PKhS3_PhS4_.has_dyn_sized_stack, 0
	.set _Z17compressKernelIIIIjEvjPKjS1_PKhS3_PhS4_.has_recursion, 0
	.set _Z17compressKernelIIIIjEvjPKjS1_PKhS3_PhS4_.has_indirect_call, 0
	.section	.AMDGPU.csdata,"",@progbits
; Kernel info:
; codeLenInByte = 1752
; TotalNumSgprs: 32
; NumVgprs: 35
; ScratchSize: 0
; MemoryBound: 0
; FloatMode: 240
; IeeeMode: 1
; LDSByteSize: 0 bytes/workgroup (compile time only)
; SGPRBlocks: 0
; VGPRBlocks: 2
; NumSGPRsForWavesPerEU: 32
; NumVGPRsForWavesPerEU: 35
; NamedBarCnt: 0
; Occupancy: 16
; WaveLimiterHint : 0
; COMPUTE_PGM_RSRC2:SCRATCH_EN: 0
; COMPUTE_PGM_RSRC2:USER_SGPR: 2
; COMPUTE_PGM_RSRC2:TRAP_HANDLER: 0
; COMPUTE_PGM_RSRC2:TGID_X_EN: 1
; COMPUTE_PGM_RSRC2:TGID_Y_EN: 0
; COMPUTE_PGM_RSRC2:TGID_Z_EN: 0
; COMPUTE_PGM_RSRC2:TIDIG_COMP_CNT: 0
	.section	.text._Z16decompressKernelIjEvPT_jPKjS3_PKhS5_,"axG",@progbits,_Z16decompressKernelIjEvPT_jPKjS3_PKhS5_,comdat
	.protected	_Z16decompressKernelIjEvPT_jPKjS3_PKhS5_ ; -- Begin function _Z16decompressKernelIjEvPT_jPKjS3_PKhS5_
	.globl	_Z16decompressKernelIjEvPT_jPKjS3_PKhS5_
	.p2align	8
	.type	_Z16decompressKernelIjEvPT_jPKjS3_PKhS5_,@function
_Z16decompressKernelIjEvPT_jPKjS3_PKhS5_: ; @_Z16decompressKernelIjEvPT_jPKjS3_PKhS5_
; %bb.0:
	s_clause 0x1
	s_load_b32 s2, s[0:1], 0x3c
	s_load_b32 s3, s[0:1], 0x8
	s_bfe_u32 s4, ttmp6, 0x4000c
	s_and_b32 s5, ttmp6, 15
	s_add_co_i32 s4, s4, 1
	s_getreg_b32 s6, hwreg(HW_REG_IB_STS2, 6, 4)
	s_mul_i32 s4, ttmp9, s4
	s_delay_alu instid0(SALU_CYCLE_1) | instskip(SKIP_4) | instid1(SALU_CYCLE_1)
	s_add_co_i32 s5, s5, s4
	s_wait_kmcnt 0x0
	s_and_b32 s2, s2, 0xffff
	s_cmp_eq_u32 s6, 0
	s_cselect_b32 s4, ttmp9, s5
	v_mad_u32 v2, s4, s2, v0
	s_mov_b32 s2, exec_lo
	s_delay_alu instid0(VALU_DEP_1)
	v_cmpx_gt_u32_e64 s3, v2
	s_cbranch_execz .LBB86_82
; %bb.1:
	s_load_b64 s[2:3], s[0:1], 0x10
	v_ashrrev_i32_e32 v3, 31, v2
	s_wait_kmcnt 0x0
	s_delay_alu instid0(VALU_DEP_1) | instskip(SKIP_3) | instid1(VALU_DEP_1)
	v_lshl_add_u64 v[0:1], v[2:3], 2, s[2:3]
	global_load_b64 v[0:1], v[0:1], off
	s_wait_loadcnt 0x0
	v_sub_nc_u32_e32 v1, v1, v0
	v_cmp_lt_i32_e32 vcc_lo, 0, v1
	s_and_b32 exec_lo, exec_lo, vcc_lo
	s_cbranch_execz .LBB86_82
; %bb.2:
	s_clause 0x1
	s_load_b128 s[4:7], s[0:1], 0x18
	s_load_b64 s[2:3], s[0:1], 0x0
	s_wait_kmcnt 0x0
	v_lshl_add_u64 v[4:5], v[2:3], 2, s[4:5]
	s_load_b64 s[0:1], s[0:1], 0x28
	v_lshlrev_b32_e32 v2, 9, v2
	s_mov_b32 s4, 0
	s_mov_b32 s5, 0
	global_load_b32 v3, v[4:5], off
	s_wait_xcnt 0x0
	v_dual_mov_b32 v4, 0 :: v_dual_mov_b32 v5, 0
	s_branch .LBB86_11
.LBB86_3:                               ;   in Loop: Header=BB86_11 Depth=1
	s_wait_xcnt 0x0
	s_or_b32 exec_lo, exec_lo, s15
	v_cmp_gt_u32_e32 vcc_lo, 0x200, v4
	s_and_b32 s15, vcc_lo, exec_lo
.LBB86_4:                               ;   in Loop: Header=BB86_11 Depth=1
	s_or_b32 exec_lo, exec_lo, s14
	s_delay_alu instid0(SALU_CYCLE_1)
	s_and_b32 s14, s15, exec_lo
.LBB86_5:                               ;   in Loop: Header=BB86_11 Depth=1
	s_or_b32 exec_lo, exec_lo, s13
	s_delay_alu instid0(SALU_CYCLE_1)
	s_and_b32 s13, s14, exec_lo
.LBB86_6:                               ;   in Loop: Header=BB86_11 Depth=1
	s_or_b32 exec_lo, exec_lo, s12
	s_delay_alu instid0(SALU_CYCLE_1)
	s_and_b32 s12, s13, exec_lo
.LBB86_7:                               ;   in Loop: Header=BB86_11 Depth=1
	s_or_b32 exec_lo, exec_lo, s11
	s_delay_alu instid0(SALU_CYCLE_1)
	s_and_b32 s11, s12, exec_lo
.LBB86_8:                               ;   in Loop: Header=BB86_11 Depth=1
	s_or_b32 exec_lo, exec_lo, s10
	s_delay_alu instid0(SALU_CYCLE_1)
	s_and_b32 s10, s11, exec_lo
.LBB86_9:                               ;   in Loop: Header=BB86_11 Depth=1
	s_or_b32 exec_lo, exec_lo, s9
	s_delay_alu instid0(SALU_CYCLE_1)
	s_and_b32 s9, s10, exec_lo
.LBB86_10:                              ;   in Loop: Header=BB86_11 Depth=1
	s_or_b32 exec_lo, exec_lo, s8
	s_add_co_i32 s5, s5, 1
	s_xor_b32 s8, s9, -1
	v_cmp_ge_i32_e32 vcc_lo, s5, v1
	s_or_b32 s8, s8, vcc_lo
	s_delay_alu instid0(SALU_CYCLE_1) | instskip(NEXT) | instid1(SALU_CYCLE_1)
	s_and_b32 s8, exec_lo, s8
	s_or_b32 s4, s8, s4
	s_delay_alu instid0(SALU_CYCLE_1)
	s_and_not1_b32 exec_lo, exec_lo, s4
	s_cbranch_execz .LBB86_82
.LBB86_11:                              ; =>This Loop Header: Depth=1
                                        ;     Child Loop BB86_14 Depth 2
                                        ;     Child Loop BB86_23 Depth 2
	;; [unrolled: 1-line block ×8, first 2 shown]
	v_add_nc_u32_e32 v6, s5, v0
	global_load_i8 v6, v6, s[6:7]
	s_wait_loadcnt 0x0
	v_and_b32_e32 v7, 1, v6
	s_delay_alu instid0(VALU_DEP_1) | instskip(SKIP_3) | instid1(SALU_CYCLE_1)
	v_cmp_eq_u32_e32 vcc_lo, 1, v7
	v_add_nc_u32_e32 v7, v5, v3
	s_wait_xcnt 0x0
	s_and_saveexec_b32 s8, vcc_lo
	s_xor_b32 s8, exec_lo, s8
	s_cbranch_execz .LBB86_17
; %bb.12:                               ;   in Loop: Header=BB86_11 Depth=1
	s_wait_kmcnt 0x0
	global_load_u8 v8, v7, s[0:1]
	s_mov_b32 s9, exec_lo
	s_wait_loadcnt 0x0
	s_wait_xcnt 0x0
	v_cmpx_ne_u16_e32 0, v8
	s_cbranch_execz .LBB86_16
; %bb.13:                               ;   in Loop: Header=BB86_11 Depth=1
	v_add_nc_u32_e32 v7, 1, v7
	s_mov_b32 s10, 0
	global_load_u8 v9, v7, s[0:1]
	s_wait_xcnt 0x0
	v_and_b32_e32 v7, 0xffff, v8
	s_wait_loadcnt 0x0
	v_sub_nc_u32_e32 v8, v2, v9
.LBB86_14:                              ;   Parent Loop BB86_11 Depth=1
                                        ; =>  This Inner Loop Header: Depth=2
	s_delay_alu instid0(VALU_DEP_1)
	v_dual_add_nc_u32 v9, v8, v4 :: v_dual_add_nc_u32 v7, -1, v7
	v_dual_add_nc_u32 v10, v2, v4 :: v_dual_add_nc_u32 v4, 1, v4
	global_load_b32 v9, v9, s[2:3] scale_offset
	v_cmp_eq_u32_e32 vcc_lo, 0, v7
	s_or_b32 s10, vcc_lo, s10
	s_wait_loadcnt 0x0
	global_store_b32 v10, v9, s[2:3] scale_offset
	s_wait_xcnt 0x0
	s_and_not1_b32 exec_lo, exec_lo, s10
	s_cbranch_execnz .LBB86_14
; %bb.15:                               ;   in Loop: Header=BB86_11 Depth=1
	s_or_b32 exec_lo, exec_lo, s10
.LBB86_16:                              ;   in Loop: Header=BB86_11 Depth=1
	s_delay_alu instid0(SALU_CYCLE_1)
	s_or_b32 exec_lo, exec_lo, s9
	v_add_nc_u32_e32 v5, 2, v5
                                        ; implicit-def: $vgpr7
.LBB86_17:                              ;   in Loop: Header=BB86_11 Depth=1
	s_and_not1_saveexec_b32 s8, s8
	s_cbranch_execz .LBB86_19
; %bb.18:                               ;   in Loop: Header=BB86_11 Depth=1
	v_dual_add_nc_u32 v8, 1, v7 :: v_dual_add_nc_u32 v9, 3, v7
	s_delay_alu instid0(VALU_DEP_2)
	v_dual_add_nc_u32 v10, 2, v7 :: v_dual_add_nc_u32 v5, 4, v5
	s_wait_kmcnt 0x0
	s_clause 0x3
	global_load_u8 v11, v7, s[0:1]
	global_load_u8 v12, v8, s[0:1]
	;; [unrolled: 1-line block ×4, first 2 shown]
	s_wait_xcnt 0x1
	v_dual_add_nc_u32 v9, v4, v2 :: v_dual_add_nc_u32 v4, 1, v4
	s_wait_loadcnt 0x2
	v_perm_b32 v7, v11, v12, 0xc0c0004
	s_wait_loadcnt 0x0
	v_perm_b32 v8, v14, v13, 0xc0c0004
	s_delay_alu instid0(VALU_DEP_1)
	v_lshl_or_b32 v7, v8, 16, v7
	global_store_b32 v9, v7, s[2:3] scale_offset
.LBB86_19:                              ;   in Loop: Header=BB86_11 Depth=1
	s_wait_xcnt 0x0
	s_or_b32 exec_lo, exec_lo, s8
	s_mov_b32 s9, 0
	s_mov_b32 s8, exec_lo
	v_cmpx_gt_u32_e32 0x200, v4
	s_xor_b32 s8, exec_lo, s8
	s_cbranch_execz .LBB86_10
; %bb.20:                               ;   in Loop: Header=BB86_11 Depth=1
	v_and_b32_e32 v7, 0xff, v6
	s_delay_alu instid0(VALU_DEP_1) | instskip(NEXT) | instid1(VALU_DEP_1)
	v_and_b32_e32 v8, 2, v7
	v_cmp_ne_u32_e32 vcc_lo, 0, v8
	v_add_nc_u32_e32 v8, v5, v3
	s_and_saveexec_b32 s9, vcc_lo
	s_delay_alu instid0(SALU_CYCLE_1)
	s_xor_b32 s9, exec_lo, s9
	s_cbranch_execz .LBB86_26
; %bb.21:                               ;   in Loop: Header=BB86_11 Depth=1
	s_wait_kmcnt 0x0
	global_load_u8 v9, v8, s[0:1]
	s_mov_b32 s10, exec_lo
	s_wait_loadcnt 0x0
	v_cmpx_ne_u16_e32 0, v9
	s_cbranch_execz .LBB86_25
; %bb.22:                               ;   in Loop: Header=BB86_11 Depth=1
	v_add_nc_u32_e32 v8, 1, v8
	s_mov_b32 s11, 0
	global_load_u8 v10, v8, s[0:1]
	s_wait_xcnt 0x0
	v_and_b32_e32 v8, 0xffff, v9
	s_wait_loadcnt 0x0
	v_sub_nc_u32_e32 v9, v2, v10
.LBB86_23:                              ;   Parent Loop BB86_11 Depth=1
                                        ; =>  This Inner Loop Header: Depth=2
	s_delay_alu instid0(VALU_DEP_1) | instskip(NEXT) | instid1(VALU_DEP_3)
	v_dual_add_nc_u32 v10, v9, v4 :: v_dual_add_nc_u32 v11, v2, v4
	v_add_nc_u32_e32 v8, -1, v8
	v_add_nc_u32_e32 v4, 1, v4
	global_load_b32 v10, v10, s[2:3] scale_offset
	v_cmp_eq_u32_e32 vcc_lo, 0, v8
	s_or_b32 s11, vcc_lo, s11
	s_wait_loadcnt 0x0
	global_store_b32 v11, v10, s[2:3] scale_offset
	s_wait_xcnt 0x0
	s_and_not1_b32 exec_lo, exec_lo, s11
	s_cbranch_execnz .LBB86_23
; %bb.24:                               ;   in Loop: Header=BB86_11 Depth=1
	s_or_b32 exec_lo, exec_lo, s11
.LBB86_25:                              ;   in Loop: Header=BB86_11 Depth=1
	s_delay_alu instid0(SALU_CYCLE_1)
	s_or_b32 exec_lo, exec_lo, s10
	v_add_nc_u32_e32 v5, 2, v5
                                        ; implicit-def: $vgpr8
.LBB86_26:                              ;   in Loop: Header=BB86_11 Depth=1
	s_and_not1_saveexec_b32 s9, s9
	s_cbranch_execz .LBB86_28
; %bb.27:                               ;   in Loop: Header=BB86_11 Depth=1
	v_dual_add_nc_u32 v9, 1, v8 :: v_dual_add_nc_u32 v10, 3, v8
	s_delay_alu instid0(VALU_DEP_2)
	v_dual_add_nc_u32 v11, 2, v8 :: v_dual_add_nc_u32 v5, 4, v5
	s_wait_kmcnt 0x0
	s_clause 0x3
	global_load_u8 v12, v8, s[0:1]
	global_load_u8 v13, v9, s[0:1]
	;; [unrolled: 1-line block ×4, first 2 shown]
	s_wait_xcnt 0x1
	v_dual_add_nc_u32 v4, 1, v4 :: v_dual_bitop2_b32 v10, v4, v2 bitop3:0x54
	s_wait_loadcnt 0x2
	v_perm_b32 v8, v12, v13, 0xc0c0004
	s_wait_loadcnt 0x0
	v_perm_b32 v9, v15, v14, 0xc0c0004
	s_delay_alu instid0(VALU_DEP_1)
	v_lshl_or_b32 v8, v9, 16, v8
	global_store_b32 v10, v8, s[2:3] scale_offset
.LBB86_28:                              ;   in Loop: Header=BB86_11 Depth=1
	s_wait_xcnt 0x0
	s_or_b32 exec_lo, exec_lo, s9
	s_mov_b32 s10, 0
	s_mov_b32 s9, exec_lo
	v_cmpx_gt_u32_e32 0x200, v4
	s_cbranch_execz .LBB86_9
; %bb.29:                               ;   in Loop: Header=BB86_11 Depth=1
	v_and_b32_e32 v8, 4, v7
	s_delay_alu instid0(VALU_DEP_1) | instskip(SKIP_2) | instid1(SALU_CYCLE_1)
	v_cmp_ne_u32_e32 vcc_lo, 0, v8
	v_add_nc_u32_e32 v8, v5, v3
	s_and_saveexec_b32 s10, vcc_lo
	s_xor_b32 s10, exec_lo, s10
	s_cbranch_execz .LBB86_35
; %bb.30:                               ;   in Loop: Header=BB86_11 Depth=1
	s_wait_kmcnt 0x0
	global_load_u8 v9, v8, s[0:1]
	s_mov_b32 s11, exec_lo
	s_wait_loadcnt 0x0
	v_cmpx_ne_u16_e32 0, v9
	s_cbranch_execz .LBB86_34
; %bb.31:                               ;   in Loop: Header=BB86_11 Depth=1
	v_add_nc_u32_e32 v8, 1, v8
	s_mov_b32 s12, 0
	global_load_u8 v10, v8, s[0:1]
	s_wait_xcnt 0x0
	v_and_b32_e32 v8, 0xffff, v9
	s_wait_loadcnt 0x0
	v_sub_nc_u32_e32 v9, v2, v10
.LBB86_32:                              ;   Parent Loop BB86_11 Depth=1
                                        ; =>  This Inner Loop Header: Depth=2
	s_delay_alu instid0(VALU_DEP_1) | instskip(NEXT) | instid1(VALU_DEP_3)
	v_dual_add_nc_u32 v10, v9, v4 :: v_dual_add_nc_u32 v11, v2, v4
	v_add_nc_u32_e32 v8, -1, v8
	v_add_nc_u32_e32 v4, 1, v4
	global_load_b32 v10, v10, s[2:3] scale_offset
	v_cmp_eq_u32_e32 vcc_lo, 0, v8
	s_or_b32 s12, vcc_lo, s12
	s_wait_loadcnt 0x0
	global_store_b32 v11, v10, s[2:3] scale_offset
	s_wait_xcnt 0x0
	s_and_not1_b32 exec_lo, exec_lo, s12
	s_cbranch_execnz .LBB86_32
; %bb.33:                               ;   in Loop: Header=BB86_11 Depth=1
	s_or_b32 exec_lo, exec_lo, s12
.LBB86_34:                              ;   in Loop: Header=BB86_11 Depth=1
	s_delay_alu instid0(SALU_CYCLE_1)
	s_or_b32 exec_lo, exec_lo, s11
	v_add_nc_u32_e32 v5, 2, v5
                                        ; implicit-def: $vgpr8
.LBB86_35:                              ;   in Loop: Header=BB86_11 Depth=1
	s_and_not1_saveexec_b32 s10, s10
	s_cbranch_execz .LBB86_37
; %bb.36:                               ;   in Loop: Header=BB86_11 Depth=1
	v_dual_add_nc_u32 v9, 1, v8 :: v_dual_add_nc_u32 v10, 3, v8
	s_delay_alu instid0(VALU_DEP_2)
	v_dual_add_nc_u32 v11, 2, v8 :: v_dual_add_nc_u32 v5, 4, v5
	s_wait_kmcnt 0x0
	s_clause 0x3
	global_load_u8 v12, v8, s[0:1]
	global_load_u8 v13, v9, s[0:1]
	;; [unrolled: 1-line block ×4, first 2 shown]
	s_wait_xcnt 0x1
	v_dual_add_nc_u32 v4, 1, v4 :: v_dual_bitop2_b32 v10, v4, v2 bitop3:0x54
	s_wait_loadcnt 0x2
	v_perm_b32 v8, v12, v13, 0xc0c0004
	s_wait_loadcnt 0x0
	v_perm_b32 v9, v15, v14, 0xc0c0004
	s_delay_alu instid0(VALU_DEP_1)
	v_lshl_or_b32 v8, v9, 16, v8
	global_store_b32 v10, v8, s[2:3] scale_offset
.LBB86_37:                              ;   in Loop: Header=BB86_11 Depth=1
	s_wait_xcnt 0x0
	s_or_b32 exec_lo, exec_lo, s10
	s_mov_b32 s11, 0
	s_mov_b32 s10, exec_lo
	v_cmpx_gt_u32_e32 0x200, v4
	s_cbranch_execz .LBB86_8
; %bb.38:                               ;   in Loop: Header=BB86_11 Depth=1
	v_and_b32_e32 v8, 8, v7
	s_delay_alu instid0(VALU_DEP_1) | instskip(SKIP_2) | instid1(SALU_CYCLE_1)
	v_cmp_ne_u32_e32 vcc_lo, 0, v8
	v_add_nc_u32_e32 v8, v5, v3
	s_and_saveexec_b32 s11, vcc_lo
	s_xor_b32 s11, exec_lo, s11
	s_cbranch_execz .LBB86_44
; %bb.39:                               ;   in Loop: Header=BB86_11 Depth=1
	s_wait_kmcnt 0x0
	global_load_u8 v9, v8, s[0:1]
	s_mov_b32 s12, exec_lo
	s_wait_loadcnt 0x0
	v_cmpx_ne_u16_e32 0, v9
	s_cbranch_execz .LBB86_43
; %bb.40:                               ;   in Loop: Header=BB86_11 Depth=1
	v_add_nc_u32_e32 v8, 1, v8
	s_mov_b32 s13, 0
	global_load_u8 v10, v8, s[0:1]
	s_wait_xcnt 0x0
	v_and_b32_e32 v8, 0xffff, v9
	s_wait_loadcnt 0x0
	v_sub_nc_u32_e32 v9, v2, v10
.LBB86_41:                              ;   Parent Loop BB86_11 Depth=1
                                        ; =>  This Inner Loop Header: Depth=2
	s_delay_alu instid0(VALU_DEP_1) | instskip(NEXT) | instid1(VALU_DEP_3)
	v_dual_add_nc_u32 v10, v9, v4 :: v_dual_add_nc_u32 v11, v2, v4
	v_add_nc_u32_e32 v8, -1, v8
	v_add_nc_u32_e32 v4, 1, v4
	global_load_b32 v10, v10, s[2:3] scale_offset
	v_cmp_eq_u32_e32 vcc_lo, 0, v8
	s_or_b32 s13, vcc_lo, s13
	s_wait_loadcnt 0x0
	global_store_b32 v11, v10, s[2:3] scale_offset
	s_wait_xcnt 0x0
	s_and_not1_b32 exec_lo, exec_lo, s13
	s_cbranch_execnz .LBB86_41
; %bb.42:                               ;   in Loop: Header=BB86_11 Depth=1
	s_or_b32 exec_lo, exec_lo, s13
.LBB86_43:                              ;   in Loop: Header=BB86_11 Depth=1
	s_delay_alu instid0(SALU_CYCLE_1)
	s_or_b32 exec_lo, exec_lo, s12
	v_add_nc_u32_e32 v5, 2, v5
                                        ; implicit-def: $vgpr8
.LBB86_44:                              ;   in Loop: Header=BB86_11 Depth=1
	s_and_not1_saveexec_b32 s11, s11
	s_cbranch_execz .LBB86_46
; %bb.45:                               ;   in Loop: Header=BB86_11 Depth=1
	v_dual_add_nc_u32 v9, 1, v8 :: v_dual_add_nc_u32 v10, 3, v8
	s_delay_alu instid0(VALU_DEP_2)
	v_dual_add_nc_u32 v11, 2, v8 :: v_dual_add_nc_u32 v5, 4, v5
	s_wait_kmcnt 0x0
	s_clause 0x3
	global_load_u8 v12, v8, s[0:1]
	global_load_u8 v13, v9, s[0:1]
	;; [unrolled: 1-line block ×4, first 2 shown]
	s_wait_xcnt 0x1
	v_dual_add_nc_u32 v4, 1, v4 :: v_dual_bitop2_b32 v10, v4, v2 bitop3:0x54
	s_wait_loadcnt 0x2
	v_perm_b32 v8, v12, v13, 0xc0c0004
	s_wait_loadcnt 0x0
	v_perm_b32 v9, v15, v14, 0xc0c0004
	s_delay_alu instid0(VALU_DEP_1)
	v_lshl_or_b32 v8, v9, 16, v8
	global_store_b32 v10, v8, s[2:3] scale_offset
.LBB86_46:                              ;   in Loop: Header=BB86_11 Depth=1
	s_wait_xcnt 0x0
	s_or_b32 exec_lo, exec_lo, s11
	s_mov_b32 s12, 0
	s_mov_b32 s11, exec_lo
	v_cmpx_gt_u32_e32 0x200, v4
	s_cbranch_execz .LBB86_7
; %bb.47:                               ;   in Loop: Header=BB86_11 Depth=1
	v_and_b32_e32 v8, 16, v7
	s_delay_alu instid0(VALU_DEP_1) | instskip(SKIP_2) | instid1(SALU_CYCLE_1)
	v_cmp_ne_u32_e32 vcc_lo, 0, v8
	v_add_nc_u32_e32 v8, v5, v3
	s_and_saveexec_b32 s12, vcc_lo
	s_xor_b32 s12, exec_lo, s12
	s_cbranch_execz .LBB86_53
; %bb.48:                               ;   in Loop: Header=BB86_11 Depth=1
	s_wait_kmcnt 0x0
	global_load_u8 v9, v8, s[0:1]
	s_mov_b32 s13, exec_lo
	s_wait_loadcnt 0x0
	v_cmpx_ne_u16_e32 0, v9
	s_cbranch_execz .LBB86_52
; %bb.49:                               ;   in Loop: Header=BB86_11 Depth=1
	v_add_nc_u32_e32 v8, 1, v8
	s_mov_b32 s14, 0
	global_load_u8 v10, v8, s[0:1]
	s_wait_xcnt 0x0
	v_and_b32_e32 v8, 0xffff, v9
	s_wait_loadcnt 0x0
	v_sub_nc_u32_e32 v9, v2, v10
.LBB86_50:                              ;   Parent Loop BB86_11 Depth=1
                                        ; =>  This Inner Loop Header: Depth=2
	s_delay_alu instid0(VALU_DEP_1) | instskip(NEXT) | instid1(VALU_DEP_3)
	v_dual_add_nc_u32 v10, v9, v4 :: v_dual_add_nc_u32 v11, v2, v4
	v_add_nc_u32_e32 v8, -1, v8
	v_add_nc_u32_e32 v4, 1, v4
	global_load_b32 v10, v10, s[2:3] scale_offset
	v_cmp_eq_u32_e32 vcc_lo, 0, v8
	s_or_b32 s14, vcc_lo, s14
	s_wait_loadcnt 0x0
	global_store_b32 v11, v10, s[2:3] scale_offset
	s_wait_xcnt 0x0
	s_and_not1_b32 exec_lo, exec_lo, s14
	s_cbranch_execnz .LBB86_50
; %bb.51:                               ;   in Loop: Header=BB86_11 Depth=1
	s_or_b32 exec_lo, exec_lo, s14
.LBB86_52:                              ;   in Loop: Header=BB86_11 Depth=1
	s_delay_alu instid0(SALU_CYCLE_1)
	s_or_b32 exec_lo, exec_lo, s13
	v_add_nc_u32_e32 v5, 2, v5
                                        ; implicit-def: $vgpr8
.LBB86_53:                              ;   in Loop: Header=BB86_11 Depth=1
	s_and_not1_saveexec_b32 s12, s12
	s_cbranch_execz .LBB86_55
; %bb.54:                               ;   in Loop: Header=BB86_11 Depth=1
	v_dual_add_nc_u32 v9, 1, v8 :: v_dual_add_nc_u32 v10, 3, v8
	s_delay_alu instid0(VALU_DEP_2)
	v_dual_add_nc_u32 v11, 2, v8 :: v_dual_add_nc_u32 v5, 4, v5
	s_wait_kmcnt 0x0
	s_clause 0x3
	global_load_u8 v12, v8, s[0:1]
	global_load_u8 v13, v9, s[0:1]
	;; [unrolled: 1-line block ×4, first 2 shown]
	s_wait_xcnt 0x1
	v_dual_add_nc_u32 v4, 1, v4 :: v_dual_bitop2_b32 v10, v4, v2 bitop3:0x54
	s_wait_loadcnt 0x2
	v_perm_b32 v8, v12, v13, 0xc0c0004
	s_wait_loadcnt 0x0
	v_perm_b32 v9, v15, v14, 0xc0c0004
	s_delay_alu instid0(VALU_DEP_1)
	v_lshl_or_b32 v8, v9, 16, v8
	global_store_b32 v10, v8, s[2:3] scale_offset
.LBB86_55:                              ;   in Loop: Header=BB86_11 Depth=1
	s_wait_xcnt 0x0
	s_or_b32 exec_lo, exec_lo, s12
	s_mov_b32 s13, 0
	s_mov_b32 s12, exec_lo
	v_cmpx_gt_u32_e32 0x200, v4
	s_cbranch_execz .LBB86_6
; %bb.56:                               ;   in Loop: Header=BB86_11 Depth=1
	v_and_b32_e32 v8, 32, v7
	s_delay_alu instid0(VALU_DEP_1) | instskip(SKIP_2) | instid1(SALU_CYCLE_1)
	v_cmp_ne_u32_e32 vcc_lo, 0, v8
	v_add_nc_u32_e32 v8, v5, v3
	s_and_saveexec_b32 s13, vcc_lo
	s_xor_b32 s13, exec_lo, s13
	s_cbranch_execz .LBB86_62
; %bb.57:                               ;   in Loop: Header=BB86_11 Depth=1
	s_wait_kmcnt 0x0
	global_load_u8 v9, v8, s[0:1]
	s_mov_b32 s14, exec_lo
	s_wait_loadcnt 0x0
	v_cmpx_ne_u16_e32 0, v9
	s_cbranch_execz .LBB86_61
; %bb.58:                               ;   in Loop: Header=BB86_11 Depth=1
	v_add_nc_u32_e32 v8, 1, v8
	s_mov_b32 s15, 0
	global_load_u8 v10, v8, s[0:1]
	s_wait_xcnt 0x0
	v_and_b32_e32 v8, 0xffff, v9
	s_wait_loadcnt 0x0
	v_sub_nc_u32_e32 v9, v2, v10
.LBB86_59:                              ;   Parent Loop BB86_11 Depth=1
                                        ; =>  This Inner Loop Header: Depth=2
	s_delay_alu instid0(VALU_DEP_1) | instskip(NEXT) | instid1(VALU_DEP_3)
	v_dual_add_nc_u32 v10, v9, v4 :: v_dual_add_nc_u32 v11, v2, v4
	v_add_nc_u32_e32 v8, -1, v8
	v_add_nc_u32_e32 v4, 1, v4
	global_load_b32 v10, v10, s[2:3] scale_offset
	v_cmp_eq_u32_e32 vcc_lo, 0, v8
	s_or_b32 s15, vcc_lo, s15
	s_wait_loadcnt 0x0
	global_store_b32 v11, v10, s[2:3] scale_offset
	s_wait_xcnt 0x0
	s_and_not1_b32 exec_lo, exec_lo, s15
	s_cbranch_execnz .LBB86_59
; %bb.60:                               ;   in Loop: Header=BB86_11 Depth=1
	s_or_b32 exec_lo, exec_lo, s15
.LBB86_61:                              ;   in Loop: Header=BB86_11 Depth=1
	s_delay_alu instid0(SALU_CYCLE_1)
	s_or_b32 exec_lo, exec_lo, s14
	v_add_nc_u32_e32 v5, 2, v5
                                        ; implicit-def: $vgpr8
.LBB86_62:                              ;   in Loop: Header=BB86_11 Depth=1
	s_and_not1_saveexec_b32 s13, s13
	s_cbranch_execz .LBB86_64
; %bb.63:                               ;   in Loop: Header=BB86_11 Depth=1
	v_dual_add_nc_u32 v9, 1, v8 :: v_dual_add_nc_u32 v10, 3, v8
	s_delay_alu instid0(VALU_DEP_2)
	v_dual_add_nc_u32 v11, 2, v8 :: v_dual_add_nc_u32 v5, 4, v5
	s_wait_kmcnt 0x0
	s_clause 0x3
	global_load_u8 v12, v8, s[0:1]
	global_load_u8 v13, v9, s[0:1]
	global_load_u8 v14, v10, s[0:1]
	global_load_u8 v15, v11, s[0:1]
	s_wait_xcnt 0x1
	v_dual_add_nc_u32 v4, 1, v4 :: v_dual_bitop2_b32 v10, v4, v2 bitop3:0x54
	s_wait_loadcnt 0x2
	v_perm_b32 v8, v12, v13, 0xc0c0004
	s_wait_loadcnt 0x0
	v_perm_b32 v9, v15, v14, 0xc0c0004
	s_delay_alu instid0(VALU_DEP_1)
	v_lshl_or_b32 v8, v9, 16, v8
	global_store_b32 v10, v8, s[2:3] scale_offset
.LBB86_64:                              ;   in Loop: Header=BB86_11 Depth=1
	s_wait_xcnt 0x0
	s_or_b32 exec_lo, exec_lo, s13
	s_mov_b32 s14, 0
	s_mov_b32 s13, exec_lo
	v_cmpx_gt_u32_e32 0x200, v4
	s_cbranch_execz .LBB86_5
; %bb.65:                               ;   in Loop: Header=BB86_11 Depth=1
	v_and_b32_e32 v7, 64, v7
	s_delay_alu instid0(VALU_DEP_1) | instskip(SKIP_2) | instid1(SALU_CYCLE_1)
	v_cmp_ne_u32_e32 vcc_lo, 0, v7
	v_add_nc_u32_e32 v7, v5, v3
	s_and_saveexec_b32 s14, vcc_lo
	s_xor_b32 s14, exec_lo, s14
	s_cbranch_execz .LBB86_71
; %bb.66:                               ;   in Loop: Header=BB86_11 Depth=1
	s_wait_kmcnt 0x0
	global_load_u8 v8, v7, s[0:1]
	s_mov_b32 s15, exec_lo
	s_wait_loadcnt 0x0
	v_cmpx_ne_u16_e32 0, v8
	s_cbranch_execz .LBB86_70
; %bb.67:                               ;   in Loop: Header=BB86_11 Depth=1
	v_add_nc_u32_e32 v7, 1, v7
	s_mov_b32 s16, 0
	global_load_u8 v9, v7, s[0:1]
	s_wait_xcnt 0x0
	v_and_b32_e32 v7, 0xffff, v8
	s_wait_loadcnt 0x0
	v_sub_nc_u32_e32 v8, v2, v9
.LBB86_68:                              ;   Parent Loop BB86_11 Depth=1
                                        ; =>  This Inner Loop Header: Depth=2
	s_delay_alu instid0(VALU_DEP_1)
	v_dual_add_nc_u32 v9, v8, v4 :: v_dual_add_nc_u32 v7, -1, v7
	v_dual_add_nc_u32 v10, v2, v4 :: v_dual_add_nc_u32 v4, 1, v4
	global_load_b32 v9, v9, s[2:3] scale_offset
	v_cmp_eq_u32_e32 vcc_lo, 0, v7
	s_or_b32 s16, vcc_lo, s16
	s_wait_loadcnt 0x0
	global_store_b32 v10, v9, s[2:3] scale_offset
	s_wait_xcnt 0x0
	s_and_not1_b32 exec_lo, exec_lo, s16
	s_cbranch_execnz .LBB86_68
; %bb.69:                               ;   in Loop: Header=BB86_11 Depth=1
	s_or_b32 exec_lo, exec_lo, s16
.LBB86_70:                              ;   in Loop: Header=BB86_11 Depth=1
	s_delay_alu instid0(SALU_CYCLE_1)
	s_or_b32 exec_lo, exec_lo, s15
	v_add_nc_u32_e32 v5, 2, v5
                                        ; implicit-def: $vgpr7
.LBB86_71:                              ;   in Loop: Header=BB86_11 Depth=1
	s_and_not1_saveexec_b32 s14, s14
	s_cbranch_execz .LBB86_73
; %bb.72:                               ;   in Loop: Header=BB86_11 Depth=1
	v_dual_add_nc_u32 v8, 1, v7 :: v_dual_add_nc_u32 v9, 3, v7
	s_delay_alu instid0(VALU_DEP_2)
	v_dual_add_nc_u32 v10, 2, v7 :: v_dual_add_nc_u32 v5, 4, v5
	s_wait_kmcnt 0x0
	s_clause 0x3
	global_load_u8 v11, v7, s[0:1]
	global_load_u8 v12, v8, s[0:1]
	global_load_u8 v13, v9, s[0:1]
	global_load_u8 v14, v10, s[0:1]
	s_wait_xcnt 0x1
	v_dual_add_nc_u32 v4, 1, v4 :: v_dual_bitop2_b32 v9, v4, v2 bitop3:0x54
	s_wait_loadcnt 0x2
	v_perm_b32 v7, v11, v12, 0xc0c0004
	s_wait_loadcnt 0x0
	v_perm_b32 v8, v14, v13, 0xc0c0004
	s_delay_alu instid0(VALU_DEP_1)
	v_lshl_or_b32 v7, v8, 16, v7
	global_store_b32 v9, v7, s[2:3] scale_offset
.LBB86_73:                              ;   in Loop: Header=BB86_11 Depth=1
	s_wait_xcnt 0x0
	s_or_b32 exec_lo, exec_lo, s14
	s_mov_b32 s15, 0
	s_mov_b32 s14, exec_lo
	v_cmpx_gt_u32_e32 0x200, v4
	s_cbranch_execz .LBB86_4
; %bb.74:                               ;   in Loop: Header=BB86_11 Depth=1
	v_cmp_gt_i16_e32 vcc_lo, 0, v6
	v_add_nc_u32_e32 v6, v5, v3
	s_and_saveexec_b32 s15, vcc_lo
	s_delay_alu instid0(SALU_CYCLE_1)
	s_xor_b32 s15, exec_lo, s15
	s_cbranch_execz .LBB86_80
; %bb.75:                               ;   in Loop: Header=BB86_11 Depth=1
	s_wait_kmcnt 0x0
	global_load_u8 v7, v6, s[0:1]
	s_mov_b32 s16, exec_lo
	s_wait_loadcnt 0x0
	v_cmpx_ne_u16_e32 0, v7
	s_cbranch_execz .LBB86_79
; %bb.76:                               ;   in Loop: Header=BB86_11 Depth=1
	v_add_nc_u32_e32 v6, 1, v6
	s_mov_b32 s17, 0
	global_load_u8 v8, v6, s[0:1]
	s_wait_xcnt 0x0
	v_and_b32_e32 v6, 0xffff, v7
	s_wait_loadcnt 0x0
	v_sub_nc_u32_e32 v7, v2, v8
.LBB86_77:                              ;   Parent Loop BB86_11 Depth=1
                                        ; =>  This Inner Loop Header: Depth=2
	s_delay_alu instid0(VALU_DEP_1)
	v_dual_add_nc_u32 v8, v7, v4 :: v_dual_add_nc_u32 v6, -1, v6
	v_dual_add_nc_u32 v9, v2, v4 :: v_dual_add_nc_u32 v4, 1, v4
	global_load_b32 v8, v8, s[2:3] scale_offset
	v_cmp_eq_u32_e32 vcc_lo, 0, v6
	s_or_b32 s17, vcc_lo, s17
	s_wait_loadcnt 0x0
	global_store_b32 v9, v8, s[2:3] scale_offset
	s_wait_xcnt 0x0
	s_and_not1_b32 exec_lo, exec_lo, s17
	s_cbranch_execnz .LBB86_77
; %bb.78:                               ;   in Loop: Header=BB86_11 Depth=1
	s_or_b32 exec_lo, exec_lo, s17
.LBB86_79:                              ;   in Loop: Header=BB86_11 Depth=1
	s_delay_alu instid0(SALU_CYCLE_1)
	s_or_b32 exec_lo, exec_lo, s16
	v_add_nc_u32_e32 v5, 2, v5
                                        ; implicit-def: $vgpr6
.LBB86_80:                              ;   in Loop: Header=BB86_11 Depth=1
	s_and_not1_saveexec_b32 s15, s15
	s_cbranch_execz .LBB86_3
; %bb.81:                               ;   in Loop: Header=BB86_11 Depth=1
	v_dual_add_nc_u32 v7, 1, v6 :: v_dual_add_nc_u32 v8, 3, v6
	s_delay_alu instid0(VALU_DEP_2)
	v_dual_add_nc_u32 v9, 2, v6 :: v_dual_add_nc_u32 v5, 4, v5
	s_wait_kmcnt 0x0
	s_clause 0x3
	global_load_u8 v10, v6, s[0:1]
	global_load_u8 v11, v7, s[0:1]
	global_load_u8 v12, v8, s[0:1]
	global_load_u8 v13, v9, s[0:1]
	s_wait_xcnt 0x1
	v_dual_add_nc_u32 v4, 1, v4 :: v_dual_bitop2_b32 v8, v4, v2 bitop3:0x54
	s_wait_loadcnt 0x2
	v_perm_b32 v6, v10, v11, 0xc0c0004
	s_wait_loadcnt 0x0
	v_perm_b32 v7, v13, v12, 0xc0c0004
	s_delay_alu instid0(VALU_DEP_1)
	v_lshl_or_b32 v6, v7, 16, v6
	global_store_b32 v8, v6, s[2:3] scale_offset
	s_branch .LBB86_3
.LBB86_82:
	s_endpgm
	.section	.rodata,"a",@progbits
	.p2align	6, 0x0
	.amdhsa_kernel _Z16decompressKernelIjEvPT_jPKjS3_PKhS5_
		.amdhsa_group_segment_fixed_size 0
		.amdhsa_private_segment_fixed_size 0
		.amdhsa_kernarg_size 304
		.amdhsa_user_sgpr_count 2
		.amdhsa_user_sgpr_dispatch_ptr 0
		.amdhsa_user_sgpr_queue_ptr 0
		.amdhsa_user_sgpr_kernarg_segment_ptr 1
		.amdhsa_user_sgpr_dispatch_id 0
		.amdhsa_user_sgpr_kernarg_preload_length 0
		.amdhsa_user_sgpr_kernarg_preload_offset 0
		.amdhsa_user_sgpr_private_segment_size 0
		.amdhsa_wavefront_size32 1
		.amdhsa_uses_dynamic_stack 0
		.amdhsa_enable_private_segment 0
		.amdhsa_system_sgpr_workgroup_id_x 1
		.amdhsa_system_sgpr_workgroup_id_y 0
		.amdhsa_system_sgpr_workgroup_id_z 0
		.amdhsa_system_sgpr_workgroup_info 0
		.amdhsa_system_vgpr_workitem_id 0
		.amdhsa_next_free_vgpr 16
		.amdhsa_next_free_sgpr 18
		.amdhsa_named_barrier_count 0
		.amdhsa_reserve_vcc 1
		.amdhsa_float_round_mode_32 0
		.amdhsa_float_round_mode_16_64 0
		.amdhsa_float_denorm_mode_32 3
		.amdhsa_float_denorm_mode_16_64 3
		.amdhsa_fp16_overflow 0
		.amdhsa_memory_ordered 1
		.amdhsa_forward_progress 1
		.amdhsa_inst_pref_size 27
		.amdhsa_round_robin_scheduling 0
		.amdhsa_exception_fp_ieee_invalid_op 0
		.amdhsa_exception_fp_denorm_src 0
		.amdhsa_exception_fp_ieee_div_zero 0
		.amdhsa_exception_fp_ieee_overflow 0
		.amdhsa_exception_fp_ieee_underflow 0
		.amdhsa_exception_fp_ieee_inexact 0
		.amdhsa_exception_int_div_zero 0
	.end_amdhsa_kernel
	.section	.text._Z16decompressKernelIjEvPT_jPKjS3_PKhS5_,"axG",@progbits,_Z16decompressKernelIjEvPT_jPKjS3_PKhS5_,comdat
.Lfunc_end86:
	.size	_Z16decompressKernelIjEvPT_jPKjS3_PKhS5_, .Lfunc_end86-_Z16decompressKernelIjEvPT_jPKjS3_PKhS5_
                                        ; -- End function
	.set _Z16decompressKernelIjEvPT_jPKjS3_PKhS5_.num_vgpr, 16
	.set _Z16decompressKernelIjEvPT_jPKjS3_PKhS5_.num_agpr, 0
	.set _Z16decompressKernelIjEvPT_jPKjS3_PKhS5_.numbered_sgpr, 18
	.set _Z16decompressKernelIjEvPT_jPKjS3_PKhS5_.num_named_barrier, 0
	.set _Z16decompressKernelIjEvPT_jPKjS3_PKhS5_.private_seg_size, 0
	.set _Z16decompressKernelIjEvPT_jPKjS3_PKhS5_.uses_vcc, 1
	.set _Z16decompressKernelIjEvPT_jPKjS3_PKhS5_.uses_flat_scratch, 0
	.set _Z16decompressKernelIjEvPT_jPKjS3_PKhS5_.has_dyn_sized_stack, 0
	.set _Z16decompressKernelIjEvPT_jPKjS3_PKhS5_.has_recursion, 0
	.set _Z16decompressKernelIjEvPT_jPKjS3_PKhS5_.has_indirect_call, 0
	.section	.AMDGPU.csdata,"",@progbits
; Kernel info:
; codeLenInByte = 3448
; TotalNumSgprs: 20
; NumVgprs: 16
; ScratchSize: 0
; MemoryBound: 0
; FloatMode: 240
; IeeeMode: 1
; LDSByteSize: 0 bytes/workgroup (compile time only)
; SGPRBlocks: 0
; VGPRBlocks: 0
; NumSGPRsForWavesPerEU: 20
; NumVGPRsForWavesPerEU: 16
; NamedBarCnt: 0
; Occupancy: 16
; WaveLimiterHint : 1
; COMPUTE_PGM_RSRC2:SCRATCH_EN: 0
; COMPUTE_PGM_RSRC2:USER_SGPR: 2
; COMPUTE_PGM_RSRC2:TRAP_HANDLER: 0
; COMPUTE_PGM_RSRC2:TGID_X_EN: 1
; COMPUTE_PGM_RSRC2:TGID_Y_EN: 0
; COMPUTE_PGM_RSRC2:TGID_Z_EN: 0
; COMPUTE_PGM_RSRC2:TIDIG_COMP_CNT: 0
	.section	.AMDGPU.gpr_maximums,"",@progbits
	.set amdgpu.max_num_vgpr, 0
	.set amdgpu.max_num_agpr, 0
	.set amdgpu.max_num_sgpr, 0
	.section	.AMDGPU.csdata,"",@progbits
	.type	__hip_cuid_84841628f2c79052,@object ; @__hip_cuid_84841628f2c79052
	.section	.bss,"aw",@nobits
	.globl	__hip_cuid_84841628f2c79052
__hip_cuid_84841628f2c79052:
	.byte	0                               ; 0x0
	.size	__hip_cuid_84841628f2c79052, 1

	.ident	"AMD clang version 22.0.0git (https://github.com/RadeonOpenCompute/llvm-project roc-7.2.4 26084 f58b06dce1f9c15707c5f808fd002e18c2accf7e)"
	.section	".note.GNU-stack","",@progbits
	.addrsig
	.addrsig_sym __hip_cuid_84841628f2c79052
	.amdgpu_metadata
---
amdhsa.kernels:
  - .args:
      - .address_space:  global
        .offset:         0
        .size:           8
        .value_kind:     global_buffer
      - .offset:         8
        .size:           4
        .value_kind:     by_value
      - .actual_access:  write_only
        .address_space:  global
        .offset:         16
        .size:           8
        .value_kind:     global_buffer
      - .actual_access:  write_only
        .address_space:  global
        .offset:         24
        .size:           8
        .value_kind:     global_buffer
      - .actual_access:  write_only
        .address_space:  global
        .offset:         32
        .size:           8
        .value_kind:     global_buffer
      - .actual_access:  write_only
        .address_space:  global
        .offset:         40
        .size:           8
        .value_kind:     global_buffer
      - .offset:         48
        .size:           4
        .value_kind:     by_value
    .group_segment_fixed_size: 5200
    .kernarg_segment_align: 8
    .kernarg_segment_size: 52
    .language:       OpenCL C
    .language_version:
      - 2
      - 0
    .max_flat_workgroup_size: 1024
    .name:           _Z15compressKernelIIjEvPKT_jPjS3_PhS4_i
    .private_segment_fixed_size: 0
    .sgpr_count:     25
    .sgpr_spill_count: 0
    .symbol:         _Z15compressKernelIIjEvPKT_jPjS3_PhS4_i.kd
    .uniform_work_group_size: 1
    .uses_dynamic_stack: false
    .vgpr_count:     24
    .vgpr_spill_count: 0
    .wavefront_size: 32
  - .args:
      - .address_space:  global
        .offset:         0
        .size:           8
        .value_kind:     global_buffer
      - .offset:         8
        .size:           4
        .value_kind:     by_value
      - .offset:         12
        .size:           1
        .value_kind:     by_value
      - .offset:         16
        .size:           4
        .value_kind:     by_value
      - .address_space:  global
        .offset:         24
        .size:           8
        .value_kind:     global_buffer
      - .offset:         32
        .size:           4
        .value_kind:     hidden_block_count_x
      - .offset:         36
        .size:           4
        .value_kind:     hidden_block_count_y
      - .offset:         40
        .size:           4
        .value_kind:     hidden_block_count_z
      - .offset:         44
        .size:           2
        .value_kind:     hidden_group_size_x
      - .offset:         46
        .size:           2
        .value_kind:     hidden_group_size_y
      - .offset:         48
        .size:           2
        .value_kind:     hidden_group_size_z
      - .offset:         50
        .size:           2
        .value_kind:     hidden_remainder_x
      - .offset:         52
        .size:           2
        .value_kind:     hidden_remainder_y
      - .offset:         54
        .size:           2
        .value_kind:     hidden_remainder_z
      - .offset:         72
        .size:           8
        .value_kind:     hidden_global_offset_x
      - .offset:         80
        .size:           8
        .value_kind:     hidden_global_offset_y
      - .offset:         88
        .size:           8
        .value_kind:     hidden_global_offset_z
      - .offset:         96
        .size:           2
        .value_kind:     hidden_grid_dims
    .group_segment_fixed_size: 0
    .kernarg_segment_align: 8
    .kernarg_segment_size: 288
    .language:       OpenCL C
    .language_version:
      - 2
      - 0
    .max_flat_workgroup_size: 256
    .name:           _ZN7rocprim17ROCPRIM_400000_NS6detail31init_lookback_scan_state_kernelINS1_19lookback_scan_stateIjLb0ELb1EEENS1_16block_id_wrapperIjLb0EEEEEvT_jT0_jPNS7_10value_typeE
    .private_segment_fixed_size: 0
    .sgpr_count:     13
    .sgpr_spill_count: 0
    .symbol:         _ZN7rocprim17ROCPRIM_400000_NS6detail31init_lookback_scan_state_kernelINS1_19lookback_scan_stateIjLb0ELb1EEENS1_16block_id_wrapperIjLb0EEEEEvT_jT0_jPNS7_10value_typeE.kd
    .uniform_work_group_size: 1
    .uses_dynamic_stack: false
    .vgpr_count:     5
    .vgpr_spill_count: 0
    .wavefront_size: 32
  - .args:
      - .offset:         0
        .size:           96
        .value_kind:     by_value
    .group_segment_fixed_size: 14336
    .kernarg_segment_align: 8
    .kernarg_segment_size: 96
    .language:       OpenCL C
    .language_version:
      - 2
      - 0
    .max_flat_workgroup_size: 256
    .name:           _ZN7rocprim17ROCPRIM_400000_NS6detail17trampoline_kernelINS0_14default_configENS1_20scan_config_selectorIjEEZZNS1_9scan_implILNS1_25lookback_scan_determinismE0ELb1ELb1ES3_PjS8_jN6hipcub16HIPCUB_304000_NS3SumEjEEDaPvRmT3_T4_T5_mT6_P12ihipStream_tbENKUlT_T0_E_clISt17integral_constantIbLb0EESP_EEDaSK_SL_EUlSK_E_NS1_11comp_targetILNS1_3genE0ELNS1_11target_archE4294967295ELNS1_3gpuE0ELNS1_3repE0EEENS1_30default_config_static_selectorELNS0_4arch9wavefront6targetE0EEEvT1_
    .private_segment_fixed_size: 0
    .sgpr_count:     39
    .sgpr_spill_count: 0
    .symbol:         _ZN7rocprim17ROCPRIM_400000_NS6detail17trampoline_kernelINS0_14default_configENS1_20scan_config_selectorIjEEZZNS1_9scan_implILNS1_25lookback_scan_determinismE0ELb1ELb1ES3_PjS8_jN6hipcub16HIPCUB_304000_NS3SumEjEEDaPvRmT3_T4_T5_mT6_P12ihipStream_tbENKUlT_T0_E_clISt17integral_constantIbLb0EESP_EEDaSK_SL_EUlSK_E_NS1_11comp_targetILNS1_3genE0ELNS1_11target_archE4294967295ELNS1_3gpuE0ELNS1_3repE0EEENS1_30default_config_static_selectorELNS0_4arch9wavefront6targetE0EEEvT1_.kd
    .uniform_work_group_size: 1
    .uses_dynamic_stack: false
    .vgpr_count:     42
    .vgpr_spill_count: 0
    .wavefront_size: 32
  - .args:
      - .offset:         0
        .size:           96
        .value_kind:     by_value
    .group_segment_fixed_size: 0
    .kernarg_segment_align: 8
    .kernarg_segment_size: 96
    .language:       OpenCL C
    .language_version:
      - 2
      - 0
    .max_flat_workgroup_size: 256
    .name:           _ZN7rocprim17ROCPRIM_400000_NS6detail17trampoline_kernelINS0_14default_configENS1_20scan_config_selectorIjEEZZNS1_9scan_implILNS1_25lookback_scan_determinismE0ELb1ELb1ES3_PjS8_jN6hipcub16HIPCUB_304000_NS3SumEjEEDaPvRmT3_T4_T5_mT6_P12ihipStream_tbENKUlT_T0_E_clISt17integral_constantIbLb0EESP_EEDaSK_SL_EUlSK_E_NS1_11comp_targetILNS1_3genE5ELNS1_11target_archE942ELNS1_3gpuE9ELNS1_3repE0EEENS1_30default_config_static_selectorELNS0_4arch9wavefront6targetE0EEEvT1_
    .private_segment_fixed_size: 0
    .sgpr_count:     0
    .sgpr_spill_count: 0
    .symbol:         _ZN7rocprim17ROCPRIM_400000_NS6detail17trampoline_kernelINS0_14default_configENS1_20scan_config_selectorIjEEZZNS1_9scan_implILNS1_25lookback_scan_determinismE0ELb1ELb1ES3_PjS8_jN6hipcub16HIPCUB_304000_NS3SumEjEEDaPvRmT3_T4_T5_mT6_P12ihipStream_tbENKUlT_T0_E_clISt17integral_constantIbLb0EESP_EEDaSK_SL_EUlSK_E_NS1_11comp_targetILNS1_3genE5ELNS1_11target_archE942ELNS1_3gpuE9ELNS1_3repE0EEENS1_30default_config_static_selectorELNS0_4arch9wavefront6targetE0EEEvT1_.kd
    .uniform_work_group_size: 1
    .uses_dynamic_stack: false
    .vgpr_count:     0
    .vgpr_spill_count: 0
    .wavefront_size: 32
  - .args:
      - .offset:         0
        .size:           96
        .value_kind:     by_value
    .group_segment_fixed_size: 0
    .kernarg_segment_align: 8
    .kernarg_segment_size: 96
    .language:       OpenCL C
    .language_version:
      - 2
      - 0
    .max_flat_workgroup_size: 128
    .name:           _ZN7rocprim17ROCPRIM_400000_NS6detail17trampoline_kernelINS0_14default_configENS1_20scan_config_selectorIjEEZZNS1_9scan_implILNS1_25lookback_scan_determinismE0ELb1ELb1ES3_PjS8_jN6hipcub16HIPCUB_304000_NS3SumEjEEDaPvRmT3_T4_T5_mT6_P12ihipStream_tbENKUlT_T0_E_clISt17integral_constantIbLb0EESP_EEDaSK_SL_EUlSK_E_NS1_11comp_targetILNS1_3genE4ELNS1_11target_archE910ELNS1_3gpuE8ELNS1_3repE0EEENS1_30default_config_static_selectorELNS0_4arch9wavefront6targetE0EEEvT1_
    .private_segment_fixed_size: 0
    .sgpr_count:     0
    .sgpr_spill_count: 0
    .symbol:         _ZN7rocprim17ROCPRIM_400000_NS6detail17trampoline_kernelINS0_14default_configENS1_20scan_config_selectorIjEEZZNS1_9scan_implILNS1_25lookback_scan_determinismE0ELb1ELb1ES3_PjS8_jN6hipcub16HIPCUB_304000_NS3SumEjEEDaPvRmT3_T4_T5_mT6_P12ihipStream_tbENKUlT_T0_E_clISt17integral_constantIbLb0EESP_EEDaSK_SL_EUlSK_E_NS1_11comp_targetILNS1_3genE4ELNS1_11target_archE910ELNS1_3gpuE8ELNS1_3repE0EEENS1_30default_config_static_selectorELNS0_4arch9wavefront6targetE0EEEvT1_.kd
    .uniform_work_group_size: 1
    .uses_dynamic_stack: false
    .vgpr_count:     0
    .vgpr_spill_count: 0
    .wavefront_size: 32
  - .args:
      - .offset:         0
        .size:           96
        .value_kind:     by_value
    .group_segment_fixed_size: 0
    .kernarg_segment_align: 8
    .kernarg_segment_size: 96
    .language:       OpenCL C
    .language_version:
      - 2
      - 0
    .max_flat_workgroup_size: 256
    .name:           _ZN7rocprim17ROCPRIM_400000_NS6detail17trampoline_kernelINS0_14default_configENS1_20scan_config_selectorIjEEZZNS1_9scan_implILNS1_25lookback_scan_determinismE0ELb1ELb1ES3_PjS8_jN6hipcub16HIPCUB_304000_NS3SumEjEEDaPvRmT3_T4_T5_mT6_P12ihipStream_tbENKUlT_T0_E_clISt17integral_constantIbLb0EESP_EEDaSK_SL_EUlSK_E_NS1_11comp_targetILNS1_3genE3ELNS1_11target_archE908ELNS1_3gpuE7ELNS1_3repE0EEENS1_30default_config_static_selectorELNS0_4arch9wavefront6targetE0EEEvT1_
    .private_segment_fixed_size: 0
    .sgpr_count:     0
    .sgpr_spill_count: 0
    .symbol:         _ZN7rocprim17ROCPRIM_400000_NS6detail17trampoline_kernelINS0_14default_configENS1_20scan_config_selectorIjEEZZNS1_9scan_implILNS1_25lookback_scan_determinismE0ELb1ELb1ES3_PjS8_jN6hipcub16HIPCUB_304000_NS3SumEjEEDaPvRmT3_T4_T5_mT6_P12ihipStream_tbENKUlT_T0_E_clISt17integral_constantIbLb0EESP_EEDaSK_SL_EUlSK_E_NS1_11comp_targetILNS1_3genE3ELNS1_11target_archE908ELNS1_3gpuE7ELNS1_3repE0EEENS1_30default_config_static_selectorELNS0_4arch9wavefront6targetE0EEEvT1_.kd
    .uniform_work_group_size: 1
    .uses_dynamic_stack: false
    .vgpr_count:     0
    .vgpr_spill_count: 0
    .wavefront_size: 32
  - .args:
      - .offset:         0
        .size:           96
        .value_kind:     by_value
    .group_segment_fixed_size: 0
    .kernarg_segment_align: 8
    .kernarg_segment_size: 96
    .language:       OpenCL C
    .language_version:
      - 2
      - 0
    .max_flat_workgroup_size: 256
    .name:           _ZN7rocprim17ROCPRIM_400000_NS6detail17trampoline_kernelINS0_14default_configENS1_20scan_config_selectorIjEEZZNS1_9scan_implILNS1_25lookback_scan_determinismE0ELb1ELb1ES3_PjS8_jN6hipcub16HIPCUB_304000_NS3SumEjEEDaPvRmT3_T4_T5_mT6_P12ihipStream_tbENKUlT_T0_E_clISt17integral_constantIbLb0EESP_EEDaSK_SL_EUlSK_E_NS1_11comp_targetILNS1_3genE2ELNS1_11target_archE906ELNS1_3gpuE6ELNS1_3repE0EEENS1_30default_config_static_selectorELNS0_4arch9wavefront6targetE0EEEvT1_
    .private_segment_fixed_size: 0
    .sgpr_count:     0
    .sgpr_spill_count: 0
    .symbol:         _ZN7rocprim17ROCPRIM_400000_NS6detail17trampoline_kernelINS0_14default_configENS1_20scan_config_selectorIjEEZZNS1_9scan_implILNS1_25lookback_scan_determinismE0ELb1ELb1ES3_PjS8_jN6hipcub16HIPCUB_304000_NS3SumEjEEDaPvRmT3_T4_T5_mT6_P12ihipStream_tbENKUlT_T0_E_clISt17integral_constantIbLb0EESP_EEDaSK_SL_EUlSK_E_NS1_11comp_targetILNS1_3genE2ELNS1_11target_archE906ELNS1_3gpuE6ELNS1_3repE0EEENS1_30default_config_static_selectorELNS0_4arch9wavefront6targetE0EEEvT1_.kd
    .uniform_work_group_size: 1
    .uses_dynamic_stack: false
    .vgpr_count:     0
    .vgpr_spill_count: 0
    .wavefront_size: 32
  - .args:
      - .offset:         0
        .size:           96
        .value_kind:     by_value
    .group_segment_fixed_size: 0
    .kernarg_segment_align: 8
    .kernarg_segment_size: 96
    .language:       OpenCL C
    .language_version:
      - 2
      - 0
    .max_flat_workgroup_size: 256
    .name:           _ZN7rocprim17ROCPRIM_400000_NS6detail17trampoline_kernelINS0_14default_configENS1_20scan_config_selectorIjEEZZNS1_9scan_implILNS1_25lookback_scan_determinismE0ELb1ELb1ES3_PjS8_jN6hipcub16HIPCUB_304000_NS3SumEjEEDaPvRmT3_T4_T5_mT6_P12ihipStream_tbENKUlT_T0_E_clISt17integral_constantIbLb0EESP_EEDaSK_SL_EUlSK_E_NS1_11comp_targetILNS1_3genE10ELNS1_11target_archE1201ELNS1_3gpuE5ELNS1_3repE0EEENS1_30default_config_static_selectorELNS0_4arch9wavefront6targetE0EEEvT1_
    .private_segment_fixed_size: 0
    .sgpr_count:     0
    .sgpr_spill_count: 0
    .symbol:         _ZN7rocprim17ROCPRIM_400000_NS6detail17trampoline_kernelINS0_14default_configENS1_20scan_config_selectorIjEEZZNS1_9scan_implILNS1_25lookback_scan_determinismE0ELb1ELb1ES3_PjS8_jN6hipcub16HIPCUB_304000_NS3SumEjEEDaPvRmT3_T4_T5_mT6_P12ihipStream_tbENKUlT_T0_E_clISt17integral_constantIbLb0EESP_EEDaSK_SL_EUlSK_E_NS1_11comp_targetILNS1_3genE10ELNS1_11target_archE1201ELNS1_3gpuE5ELNS1_3repE0EEENS1_30default_config_static_selectorELNS0_4arch9wavefront6targetE0EEEvT1_.kd
    .uniform_work_group_size: 1
    .uses_dynamic_stack: false
    .vgpr_count:     0
    .vgpr_spill_count: 0
    .wavefront_size: 32
  - .args:
      - .offset:         0
        .size:           96
        .value_kind:     by_value
    .group_segment_fixed_size: 0
    .kernarg_segment_align: 8
    .kernarg_segment_size: 96
    .language:       OpenCL C
    .language_version:
      - 2
      - 0
    .max_flat_workgroup_size: 256
    .name:           _ZN7rocprim17ROCPRIM_400000_NS6detail17trampoline_kernelINS0_14default_configENS1_20scan_config_selectorIjEEZZNS1_9scan_implILNS1_25lookback_scan_determinismE0ELb1ELb1ES3_PjS8_jN6hipcub16HIPCUB_304000_NS3SumEjEEDaPvRmT3_T4_T5_mT6_P12ihipStream_tbENKUlT_T0_E_clISt17integral_constantIbLb0EESP_EEDaSK_SL_EUlSK_E_NS1_11comp_targetILNS1_3genE10ELNS1_11target_archE1200ELNS1_3gpuE4ELNS1_3repE0EEENS1_30default_config_static_selectorELNS0_4arch9wavefront6targetE0EEEvT1_
    .private_segment_fixed_size: 0
    .sgpr_count:     0
    .sgpr_spill_count: 0
    .symbol:         _ZN7rocprim17ROCPRIM_400000_NS6detail17trampoline_kernelINS0_14default_configENS1_20scan_config_selectorIjEEZZNS1_9scan_implILNS1_25lookback_scan_determinismE0ELb1ELb1ES3_PjS8_jN6hipcub16HIPCUB_304000_NS3SumEjEEDaPvRmT3_T4_T5_mT6_P12ihipStream_tbENKUlT_T0_E_clISt17integral_constantIbLb0EESP_EEDaSK_SL_EUlSK_E_NS1_11comp_targetILNS1_3genE10ELNS1_11target_archE1200ELNS1_3gpuE4ELNS1_3repE0EEENS1_30default_config_static_selectorELNS0_4arch9wavefront6targetE0EEEvT1_.kd
    .uniform_work_group_size: 1
    .uses_dynamic_stack: false
    .vgpr_count:     0
    .vgpr_spill_count: 0
    .wavefront_size: 32
  - .args:
      - .offset:         0
        .size:           96
        .value_kind:     by_value
    .group_segment_fixed_size: 0
    .kernarg_segment_align: 8
    .kernarg_segment_size: 96
    .language:       OpenCL C
    .language_version:
      - 2
      - 0
    .max_flat_workgroup_size: 256
    .name:           _ZN7rocprim17ROCPRIM_400000_NS6detail17trampoline_kernelINS0_14default_configENS1_20scan_config_selectorIjEEZZNS1_9scan_implILNS1_25lookback_scan_determinismE0ELb1ELb1ES3_PjS8_jN6hipcub16HIPCUB_304000_NS3SumEjEEDaPvRmT3_T4_T5_mT6_P12ihipStream_tbENKUlT_T0_E_clISt17integral_constantIbLb0EESP_EEDaSK_SL_EUlSK_E_NS1_11comp_targetILNS1_3genE9ELNS1_11target_archE1100ELNS1_3gpuE3ELNS1_3repE0EEENS1_30default_config_static_selectorELNS0_4arch9wavefront6targetE0EEEvT1_
    .private_segment_fixed_size: 0
    .sgpr_count:     0
    .sgpr_spill_count: 0
    .symbol:         _ZN7rocprim17ROCPRIM_400000_NS6detail17trampoline_kernelINS0_14default_configENS1_20scan_config_selectorIjEEZZNS1_9scan_implILNS1_25lookback_scan_determinismE0ELb1ELb1ES3_PjS8_jN6hipcub16HIPCUB_304000_NS3SumEjEEDaPvRmT3_T4_T5_mT6_P12ihipStream_tbENKUlT_T0_E_clISt17integral_constantIbLb0EESP_EEDaSK_SL_EUlSK_E_NS1_11comp_targetILNS1_3genE9ELNS1_11target_archE1100ELNS1_3gpuE3ELNS1_3repE0EEENS1_30default_config_static_selectorELNS0_4arch9wavefront6targetE0EEEvT1_.kd
    .uniform_work_group_size: 1
    .uses_dynamic_stack: false
    .vgpr_count:     0
    .vgpr_spill_count: 0
    .wavefront_size: 32
  - .args:
      - .offset:         0
        .size:           96
        .value_kind:     by_value
    .group_segment_fixed_size: 0
    .kernarg_segment_align: 8
    .kernarg_segment_size: 96
    .language:       OpenCL C
    .language_version:
      - 2
      - 0
    .max_flat_workgroup_size: 64
    .name:           _ZN7rocprim17ROCPRIM_400000_NS6detail17trampoline_kernelINS0_14default_configENS1_20scan_config_selectorIjEEZZNS1_9scan_implILNS1_25lookback_scan_determinismE0ELb1ELb1ES3_PjS8_jN6hipcub16HIPCUB_304000_NS3SumEjEEDaPvRmT3_T4_T5_mT6_P12ihipStream_tbENKUlT_T0_E_clISt17integral_constantIbLb0EESP_EEDaSK_SL_EUlSK_E_NS1_11comp_targetILNS1_3genE8ELNS1_11target_archE1030ELNS1_3gpuE2ELNS1_3repE0EEENS1_30default_config_static_selectorELNS0_4arch9wavefront6targetE0EEEvT1_
    .private_segment_fixed_size: 0
    .sgpr_count:     0
    .sgpr_spill_count: 0
    .symbol:         _ZN7rocprim17ROCPRIM_400000_NS6detail17trampoline_kernelINS0_14default_configENS1_20scan_config_selectorIjEEZZNS1_9scan_implILNS1_25lookback_scan_determinismE0ELb1ELb1ES3_PjS8_jN6hipcub16HIPCUB_304000_NS3SumEjEEDaPvRmT3_T4_T5_mT6_P12ihipStream_tbENKUlT_T0_E_clISt17integral_constantIbLb0EESP_EEDaSK_SL_EUlSK_E_NS1_11comp_targetILNS1_3genE8ELNS1_11target_archE1030ELNS1_3gpuE2ELNS1_3repE0EEENS1_30default_config_static_selectorELNS0_4arch9wavefront6targetE0EEEvT1_.kd
    .uniform_work_group_size: 1
    .uses_dynamic_stack: false
    .vgpr_count:     0
    .vgpr_spill_count: 0
    .wavefront_size: 32
  - .args:
      - .offset:         0
        .size:           40
        .value_kind:     by_value
      - .offset:         40
        .size:           4
        .value_kind:     hidden_block_count_x
      - .offset:         44
        .size:           4
        .value_kind:     hidden_block_count_y
      - .offset:         48
        .size:           4
        .value_kind:     hidden_block_count_z
      - .offset:         52
        .size:           2
        .value_kind:     hidden_group_size_x
      - .offset:         54
        .size:           2
        .value_kind:     hidden_group_size_y
      - .offset:         56
        .size:           2
        .value_kind:     hidden_group_size_z
      - .offset:         58
        .size:           2
        .value_kind:     hidden_remainder_x
      - .offset:         60
        .size:           2
        .value_kind:     hidden_remainder_y
      - .offset:         62
        .size:           2
        .value_kind:     hidden_remainder_z
      - .offset:         80
        .size:           8
        .value_kind:     hidden_global_offset_x
      - .offset:         88
        .size:           8
        .value_kind:     hidden_global_offset_y
      - .offset:         96
        .size:           8
        .value_kind:     hidden_global_offset_z
      - .offset:         104
        .size:           2
        .value_kind:     hidden_grid_dims
    .group_segment_fixed_size: 0
    .kernarg_segment_align: 8
    .kernarg_segment_size: 296
    .language:       OpenCL C
    .language_version:
      - 2
      - 0
    .max_flat_workgroup_size: 128
    .name:           _ZN7rocprim17ROCPRIM_400000_NS6detail17trampoline_kernelINS0_14default_configENS1_25transform_config_selectorIjLb1EEEZNS1_14transform_implILb1ES3_S5_PjS7_NS0_8identityIjEEEE10hipError_tT2_T3_mT4_P12ihipStream_tbEUlT_E_NS1_11comp_targetILNS1_3genE0ELNS1_11target_archE4294967295ELNS1_3gpuE0ELNS1_3repE0EEENS1_30default_config_static_selectorELNS0_4arch9wavefront6targetE0EEEvT1_
    .private_segment_fixed_size: 0
    .sgpr_count:     16
    .sgpr_spill_count: 0
    .symbol:         _ZN7rocprim17ROCPRIM_400000_NS6detail17trampoline_kernelINS0_14default_configENS1_25transform_config_selectorIjLb1EEEZNS1_14transform_implILb1ES3_S5_PjS7_NS0_8identityIjEEEE10hipError_tT2_T3_mT4_P12ihipStream_tbEUlT_E_NS1_11comp_targetILNS1_3genE0ELNS1_11target_archE4294967295ELNS1_3gpuE0ELNS1_3repE0EEENS1_30default_config_static_selectorELNS0_4arch9wavefront6targetE0EEEvT1_.kd
    .uniform_work_group_size: 1
    .uses_dynamic_stack: false
    .vgpr_count:     4
    .vgpr_spill_count: 0
    .wavefront_size: 32
  - .args:
      - .offset:         0
        .size:           40
        .value_kind:     by_value
    .group_segment_fixed_size: 0
    .kernarg_segment_align: 8
    .kernarg_segment_size: 40
    .language:       OpenCL C
    .language_version:
      - 2
      - 0
    .max_flat_workgroup_size: 1024
    .name:           _ZN7rocprim17ROCPRIM_400000_NS6detail17trampoline_kernelINS0_14default_configENS1_25transform_config_selectorIjLb1EEEZNS1_14transform_implILb1ES3_S5_PjS7_NS0_8identityIjEEEE10hipError_tT2_T3_mT4_P12ihipStream_tbEUlT_E_NS1_11comp_targetILNS1_3genE10ELNS1_11target_archE1201ELNS1_3gpuE5ELNS1_3repE0EEENS1_30default_config_static_selectorELNS0_4arch9wavefront6targetE0EEEvT1_
    .private_segment_fixed_size: 0
    .sgpr_count:     0
    .sgpr_spill_count: 0
    .symbol:         _ZN7rocprim17ROCPRIM_400000_NS6detail17trampoline_kernelINS0_14default_configENS1_25transform_config_selectorIjLb1EEEZNS1_14transform_implILb1ES3_S5_PjS7_NS0_8identityIjEEEE10hipError_tT2_T3_mT4_P12ihipStream_tbEUlT_E_NS1_11comp_targetILNS1_3genE10ELNS1_11target_archE1201ELNS1_3gpuE5ELNS1_3repE0EEENS1_30default_config_static_selectorELNS0_4arch9wavefront6targetE0EEEvT1_.kd
    .uniform_work_group_size: 1
    .uses_dynamic_stack: false
    .vgpr_count:     0
    .vgpr_spill_count: 0
    .wavefront_size: 32
  - .args:
      - .offset:         0
        .size:           40
        .value_kind:     by_value
    .group_segment_fixed_size: 0
    .kernarg_segment_align: 8
    .kernarg_segment_size: 40
    .language:       OpenCL C
    .language_version:
      - 2
      - 0
    .max_flat_workgroup_size: 256
    .name:           _ZN7rocprim17ROCPRIM_400000_NS6detail17trampoline_kernelINS0_14default_configENS1_25transform_config_selectorIjLb1EEEZNS1_14transform_implILb1ES3_S5_PjS7_NS0_8identityIjEEEE10hipError_tT2_T3_mT4_P12ihipStream_tbEUlT_E_NS1_11comp_targetILNS1_3genE5ELNS1_11target_archE942ELNS1_3gpuE9ELNS1_3repE0EEENS1_30default_config_static_selectorELNS0_4arch9wavefront6targetE0EEEvT1_
    .private_segment_fixed_size: 0
    .sgpr_count:     0
    .sgpr_spill_count: 0
    .symbol:         _ZN7rocprim17ROCPRIM_400000_NS6detail17trampoline_kernelINS0_14default_configENS1_25transform_config_selectorIjLb1EEEZNS1_14transform_implILb1ES3_S5_PjS7_NS0_8identityIjEEEE10hipError_tT2_T3_mT4_P12ihipStream_tbEUlT_E_NS1_11comp_targetILNS1_3genE5ELNS1_11target_archE942ELNS1_3gpuE9ELNS1_3repE0EEENS1_30default_config_static_selectorELNS0_4arch9wavefront6targetE0EEEvT1_.kd
    .uniform_work_group_size: 1
    .uses_dynamic_stack: false
    .vgpr_count:     0
    .vgpr_spill_count: 0
    .wavefront_size: 32
  - .args:
      - .offset:         0
        .size:           40
        .value_kind:     by_value
    .group_segment_fixed_size: 0
    .kernarg_segment_align: 8
    .kernarg_segment_size: 40
    .language:       OpenCL C
    .language_version:
      - 2
      - 0
    .max_flat_workgroup_size: 1024
    .name:           _ZN7rocprim17ROCPRIM_400000_NS6detail17trampoline_kernelINS0_14default_configENS1_25transform_config_selectorIjLb1EEEZNS1_14transform_implILb1ES3_S5_PjS7_NS0_8identityIjEEEE10hipError_tT2_T3_mT4_P12ihipStream_tbEUlT_E_NS1_11comp_targetILNS1_3genE4ELNS1_11target_archE910ELNS1_3gpuE8ELNS1_3repE0EEENS1_30default_config_static_selectorELNS0_4arch9wavefront6targetE0EEEvT1_
    .private_segment_fixed_size: 0
    .sgpr_count:     0
    .sgpr_spill_count: 0
    .symbol:         _ZN7rocprim17ROCPRIM_400000_NS6detail17trampoline_kernelINS0_14default_configENS1_25transform_config_selectorIjLb1EEEZNS1_14transform_implILb1ES3_S5_PjS7_NS0_8identityIjEEEE10hipError_tT2_T3_mT4_P12ihipStream_tbEUlT_E_NS1_11comp_targetILNS1_3genE4ELNS1_11target_archE910ELNS1_3gpuE8ELNS1_3repE0EEENS1_30default_config_static_selectorELNS0_4arch9wavefront6targetE0EEEvT1_.kd
    .uniform_work_group_size: 1
    .uses_dynamic_stack: false
    .vgpr_count:     0
    .vgpr_spill_count: 0
    .wavefront_size: 32
  - .args:
      - .offset:         0
        .size:           40
        .value_kind:     by_value
    .group_segment_fixed_size: 0
    .kernarg_segment_align: 8
    .kernarg_segment_size: 40
    .language:       OpenCL C
    .language_version:
      - 2
      - 0
    .max_flat_workgroup_size: 128
    .name:           _ZN7rocprim17ROCPRIM_400000_NS6detail17trampoline_kernelINS0_14default_configENS1_25transform_config_selectorIjLb1EEEZNS1_14transform_implILb1ES3_S5_PjS7_NS0_8identityIjEEEE10hipError_tT2_T3_mT4_P12ihipStream_tbEUlT_E_NS1_11comp_targetILNS1_3genE3ELNS1_11target_archE908ELNS1_3gpuE7ELNS1_3repE0EEENS1_30default_config_static_selectorELNS0_4arch9wavefront6targetE0EEEvT1_
    .private_segment_fixed_size: 0
    .sgpr_count:     0
    .sgpr_spill_count: 0
    .symbol:         _ZN7rocprim17ROCPRIM_400000_NS6detail17trampoline_kernelINS0_14default_configENS1_25transform_config_selectorIjLb1EEEZNS1_14transform_implILb1ES3_S5_PjS7_NS0_8identityIjEEEE10hipError_tT2_T3_mT4_P12ihipStream_tbEUlT_E_NS1_11comp_targetILNS1_3genE3ELNS1_11target_archE908ELNS1_3gpuE7ELNS1_3repE0EEENS1_30default_config_static_selectorELNS0_4arch9wavefront6targetE0EEEvT1_.kd
    .uniform_work_group_size: 1
    .uses_dynamic_stack: false
    .vgpr_count:     0
    .vgpr_spill_count: 0
    .wavefront_size: 32
  - .args:
      - .offset:         0
        .size:           40
        .value_kind:     by_value
    .group_segment_fixed_size: 0
    .kernarg_segment_align: 8
    .kernarg_segment_size: 40
    .language:       OpenCL C
    .language_version:
      - 2
      - 0
    .max_flat_workgroup_size: 1024
    .name:           _ZN7rocprim17ROCPRIM_400000_NS6detail17trampoline_kernelINS0_14default_configENS1_25transform_config_selectorIjLb1EEEZNS1_14transform_implILb1ES3_S5_PjS7_NS0_8identityIjEEEE10hipError_tT2_T3_mT4_P12ihipStream_tbEUlT_E_NS1_11comp_targetILNS1_3genE2ELNS1_11target_archE906ELNS1_3gpuE6ELNS1_3repE0EEENS1_30default_config_static_selectorELNS0_4arch9wavefront6targetE0EEEvT1_
    .private_segment_fixed_size: 0
    .sgpr_count:     0
    .sgpr_spill_count: 0
    .symbol:         _ZN7rocprim17ROCPRIM_400000_NS6detail17trampoline_kernelINS0_14default_configENS1_25transform_config_selectorIjLb1EEEZNS1_14transform_implILb1ES3_S5_PjS7_NS0_8identityIjEEEE10hipError_tT2_T3_mT4_P12ihipStream_tbEUlT_E_NS1_11comp_targetILNS1_3genE2ELNS1_11target_archE906ELNS1_3gpuE6ELNS1_3repE0EEENS1_30default_config_static_selectorELNS0_4arch9wavefront6targetE0EEEvT1_.kd
    .uniform_work_group_size: 1
    .uses_dynamic_stack: false
    .vgpr_count:     0
    .vgpr_spill_count: 0
    .wavefront_size: 32
  - .args:
      - .offset:         0
        .size:           40
        .value_kind:     by_value
    .group_segment_fixed_size: 0
    .kernarg_segment_align: 8
    .kernarg_segment_size: 40
    .language:       OpenCL C
    .language_version:
      - 2
      - 0
    .max_flat_workgroup_size: 1024
    .name:           _ZN7rocprim17ROCPRIM_400000_NS6detail17trampoline_kernelINS0_14default_configENS1_25transform_config_selectorIjLb1EEEZNS1_14transform_implILb1ES3_S5_PjS7_NS0_8identityIjEEEE10hipError_tT2_T3_mT4_P12ihipStream_tbEUlT_E_NS1_11comp_targetILNS1_3genE9ELNS1_11target_archE1100ELNS1_3gpuE3ELNS1_3repE0EEENS1_30default_config_static_selectorELNS0_4arch9wavefront6targetE0EEEvT1_
    .private_segment_fixed_size: 0
    .sgpr_count:     0
    .sgpr_spill_count: 0
    .symbol:         _ZN7rocprim17ROCPRIM_400000_NS6detail17trampoline_kernelINS0_14default_configENS1_25transform_config_selectorIjLb1EEEZNS1_14transform_implILb1ES3_S5_PjS7_NS0_8identityIjEEEE10hipError_tT2_T3_mT4_P12ihipStream_tbEUlT_E_NS1_11comp_targetILNS1_3genE9ELNS1_11target_archE1100ELNS1_3gpuE3ELNS1_3repE0EEENS1_30default_config_static_selectorELNS0_4arch9wavefront6targetE0EEEvT1_.kd
    .uniform_work_group_size: 1
    .uses_dynamic_stack: false
    .vgpr_count:     0
    .vgpr_spill_count: 0
    .wavefront_size: 32
  - .args:
      - .offset:         0
        .size:           40
        .value_kind:     by_value
    .group_segment_fixed_size: 0
    .kernarg_segment_align: 8
    .kernarg_segment_size: 40
    .language:       OpenCL C
    .language_version:
      - 2
      - 0
    .max_flat_workgroup_size: 1024
    .name:           _ZN7rocprim17ROCPRIM_400000_NS6detail17trampoline_kernelINS0_14default_configENS1_25transform_config_selectorIjLb1EEEZNS1_14transform_implILb1ES3_S5_PjS7_NS0_8identityIjEEEE10hipError_tT2_T3_mT4_P12ihipStream_tbEUlT_E_NS1_11comp_targetILNS1_3genE8ELNS1_11target_archE1030ELNS1_3gpuE2ELNS1_3repE0EEENS1_30default_config_static_selectorELNS0_4arch9wavefront6targetE0EEEvT1_
    .private_segment_fixed_size: 0
    .sgpr_count:     0
    .sgpr_spill_count: 0
    .symbol:         _ZN7rocprim17ROCPRIM_400000_NS6detail17trampoline_kernelINS0_14default_configENS1_25transform_config_selectorIjLb1EEEZNS1_14transform_implILb1ES3_S5_PjS7_NS0_8identityIjEEEE10hipError_tT2_T3_mT4_P12ihipStream_tbEUlT_E_NS1_11comp_targetILNS1_3genE8ELNS1_11target_archE1030ELNS1_3gpuE2ELNS1_3repE0EEENS1_30default_config_static_selectorELNS0_4arch9wavefront6targetE0EEEvT1_.kd
    .uniform_work_group_size: 1
    .uses_dynamic_stack: false
    .vgpr_count:     0
    .vgpr_spill_count: 0
    .wavefront_size: 32
  - .args:
      - .offset:         0
        .size:           32
        .value_kind:     by_value
    .group_segment_fixed_size: 14336
    .kernarg_segment_align: 8
    .kernarg_segment_size: 32
    .language:       OpenCL C
    .language_version:
      - 2
      - 0
    .max_flat_workgroup_size: 256
    .name:           _ZN7rocprim17ROCPRIM_400000_NS6detail17trampoline_kernelINS0_14default_configENS1_20scan_config_selectorIjEEZZNS1_9scan_implILNS1_25lookback_scan_determinismE0ELb1ELb1ES3_PjS8_jN6hipcub16HIPCUB_304000_NS3SumEjEEDaPvRmT3_T4_T5_mT6_P12ihipStream_tbENKUlT_T0_E_clISt17integral_constantIbLb0EESP_EEDaSK_SL_EUlSK_E0_NS1_11comp_targetILNS1_3genE0ELNS1_11target_archE4294967295ELNS1_3gpuE0ELNS1_3repE0EEENS1_30default_config_static_selectorELNS0_4arch9wavefront6targetE0EEEvT1_
    .private_segment_fixed_size: 0
    .sgpr_count:     22
    .sgpr_spill_count: 0
    .symbol:         _ZN7rocprim17ROCPRIM_400000_NS6detail17trampoline_kernelINS0_14default_configENS1_20scan_config_selectorIjEEZZNS1_9scan_implILNS1_25lookback_scan_determinismE0ELb1ELb1ES3_PjS8_jN6hipcub16HIPCUB_304000_NS3SumEjEEDaPvRmT3_T4_T5_mT6_P12ihipStream_tbENKUlT_T0_E_clISt17integral_constantIbLb0EESP_EEDaSK_SL_EUlSK_E0_NS1_11comp_targetILNS1_3genE0ELNS1_11target_archE4294967295ELNS1_3gpuE0ELNS1_3repE0EEENS1_30default_config_static_selectorELNS0_4arch9wavefront6targetE0EEEvT1_.kd
    .uniform_work_group_size: 1
    .uses_dynamic_stack: false
    .vgpr_count:     22
    .vgpr_spill_count: 0
    .wavefront_size: 32
  - .args:
      - .offset:         0
        .size:           32
        .value_kind:     by_value
    .group_segment_fixed_size: 0
    .kernarg_segment_align: 8
    .kernarg_segment_size: 32
    .language:       OpenCL C
    .language_version:
      - 2
      - 0
    .max_flat_workgroup_size: 256
    .name:           _ZN7rocprim17ROCPRIM_400000_NS6detail17trampoline_kernelINS0_14default_configENS1_20scan_config_selectorIjEEZZNS1_9scan_implILNS1_25lookback_scan_determinismE0ELb1ELb1ES3_PjS8_jN6hipcub16HIPCUB_304000_NS3SumEjEEDaPvRmT3_T4_T5_mT6_P12ihipStream_tbENKUlT_T0_E_clISt17integral_constantIbLb0EESP_EEDaSK_SL_EUlSK_E0_NS1_11comp_targetILNS1_3genE5ELNS1_11target_archE942ELNS1_3gpuE9ELNS1_3repE0EEENS1_30default_config_static_selectorELNS0_4arch9wavefront6targetE0EEEvT1_
    .private_segment_fixed_size: 0
    .sgpr_count:     0
    .sgpr_spill_count: 0
    .symbol:         _ZN7rocprim17ROCPRIM_400000_NS6detail17trampoline_kernelINS0_14default_configENS1_20scan_config_selectorIjEEZZNS1_9scan_implILNS1_25lookback_scan_determinismE0ELb1ELb1ES3_PjS8_jN6hipcub16HIPCUB_304000_NS3SumEjEEDaPvRmT3_T4_T5_mT6_P12ihipStream_tbENKUlT_T0_E_clISt17integral_constantIbLb0EESP_EEDaSK_SL_EUlSK_E0_NS1_11comp_targetILNS1_3genE5ELNS1_11target_archE942ELNS1_3gpuE9ELNS1_3repE0EEENS1_30default_config_static_selectorELNS0_4arch9wavefront6targetE0EEEvT1_.kd
    .uniform_work_group_size: 1
    .uses_dynamic_stack: false
    .vgpr_count:     0
    .vgpr_spill_count: 0
    .wavefront_size: 32
  - .args:
      - .offset:         0
        .size:           32
        .value_kind:     by_value
    .group_segment_fixed_size: 0
    .kernarg_segment_align: 8
    .kernarg_segment_size: 32
    .language:       OpenCL C
    .language_version:
      - 2
      - 0
    .max_flat_workgroup_size: 128
    .name:           _ZN7rocprim17ROCPRIM_400000_NS6detail17trampoline_kernelINS0_14default_configENS1_20scan_config_selectorIjEEZZNS1_9scan_implILNS1_25lookback_scan_determinismE0ELb1ELb1ES3_PjS8_jN6hipcub16HIPCUB_304000_NS3SumEjEEDaPvRmT3_T4_T5_mT6_P12ihipStream_tbENKUlT_T0_E_clISt17integral_constantIbLb0EESP_EEDaSK_SL_EUlSK_E0_NS1_11comp_targetILNS1_3genE4ELNS1_11target_archE910ELNS1_3gpuE8ELNS1_3repE0EEENS1_30default_config_static_selectorELNS0_4arch9wavefront6targetE0EEEvT1_
    .private_segment_fixed_size: 0
    .sgpr_count:     0
    .sgpr_spill_count: 0
    .symbol:         _ZN7rocprim17ROCPRIM_400000_NS6detail17trampoline_kernelINS0_14default_configENS1_20scan_config_selectorIjEEZZNS1_9scan_implILNS1_25lookback_scan_determinismE0ELb1ELb1ES3_PjS8_jN6hipcub16HIPCUB_304000_NS3SumEjEEDaPvRmT3_T4_T5_mT6_P12ihipStream_tbENKUlT_T0_E_clISt17integral_constantIbLb0EESP_EEDaSK_SL_EUlSK_E0_NS1_11comp_targetILNS1_3genE4ELNS1_11target_archE910ELNS1_3gpuE8ELNS1_3repE0EEENS1_30default_config_static_selectorELNS0_4arch9wavefront6targetE0EEEvT1_.kd
    .uniform_work_group_size: 1
    .uses_dynamic_stack: false
    .vgpr_count:     0
    .vgpr_spill_count: 0
    .wavefront_size: 32
  - .args:
      - .offset:         0
        .size:           32
        .value_kind:     by_value
    .group_segment_fixed_size: 0
    .kernarg_segment_align: 8
    .kernarg_segment_size: 32
    .language:       OpenCL C
    .language_version:
      - 2
      - 0
    .max_flat_workgroup_size: 256
    .name:           _ZN7rocprim17ROCPRIM_400000_NS6detail17trampoline_kernelINS0_14default_configENS1_20scan_config_selectorIjEEZZNS1_9scan_implILNS1_25lookback_scan_determinismE0ELb1ELb1ES3_PjS8_jN6hipcub16HIPCUB_304000_NS3SumEjEEDaPvRmT3_T4_T5_mT6_P12ihipStream_tbENKUlT_T0_E_clISt17integral_constantIbLb0EESP_EEDaSK_SL_EUlSK_E0_NS1_11comp_targetILNS1_3genE3ELNS1_11target_archE908ELNS1_3gpuE7ELNS1_3repE0EEENS1_30default_config_static_selectorELNS0_4arch9wavefront6targetE0EEEvT1_
    .private_segment_fixed_size: 0
    .sgpr_count:     0
    .sgpr_spill_count: 0
    .symbol:         _ZN7rocprim17ROCPRIM_400000_NS6detail17trampoline_kernelINS0_14default_configENS1_20scan_config_selectorIjEEZZNS1_9scan_implILNS1_25lookback_scan_determinismE0ELb1ELb1ES3_PjS8_jN6hipcub16HIPCUB_304000_NS3SumEjEEDaPvRmT3_T4_T5_mT6_P12ihipStream_tbENKUlT_T0_E_clISt17integral_constantIbLb0EESP_EEDaSK_SL_EUlSK_E0_NS1_11comp_targetILNS1_3genE3ELNS1_11target_archE908ELNS1_3gpuE7ELNS1_3repE0EEENS1_30default_config_static_selectorELNS0_4arch9wavefront6targetE0EEEvT1_.kd
    .uniform_work_group_size: 1
    .uses_dynamic_stack: false
    .vgpr_count:     0
    .vgpr_spill_count: 0
    .wavefront_size: 32
  - .args:
      - .offset:         0
        .size:           32
        .value_kind:     by_value
    .group_segment_fixed_size: 0
    .kernarg_segment_align: 8
    .kernarg_segment_size: 32
    .language:       OpenCL C
    .language_version:
      - 2
      - 0
    .max_flat_workgroup_size: 256
    .name:           _ZN7rocprim17ROCPRIM_400000_NS6detail17trampoline_kernelINS0_14default_configENS1_20scan_config_selectorIjEEZZNS1_9scan_implILNS1_25lookback_scan_determinismE0ELb1ELb1ES3_PjS8_jN6hipcub16HIPCUB_304000_NS3SumEjEEDaPvRmT3_T4_T5_mT6_P12ihipStream_tbENKUlT_T0_E_clISt17integral_constantIbLb0EESP_EEDaSK_SL_EUlSK_E0_NS1_11comp_targetILNS1_3genE2ELNS1_11target_archE906ELNS1_3gpuE6ELNS1_3repE0EEENS1_30default_config_static_selectorELNS0_4arch9wavefront6targetE0EEEvT1_
    .private_segment_fixed_size: 0
    .sgpr_count:     0
    .sgpr_spill_count: 0
    .symbol:         _ZN7rocprim17ROCPRIM_400000_NS6detail17trampoline_kernelINS0_14default_configENS1_20scan_config_selectorIjEEZZNS1_9scan_implILNS1_25lookback_scan_determinismE0ELb1ELb1ES3_PjS8_jN6hipcub16HIPCUB_304000_NS3SumEjEEDaPvRmT3_T4_T5_mT6_P12ihipStream_tbENKUlT_T0_E_clISt17integral_constantIbLb0EESP_EEDaSK_SL_EUlSK_E0_NS1_11comp_targetILNS1_3genE2ELNS1_11target_archE906ELNS1_3gpuE6ELNS1_3repE0EEENS1_30default_config_static_selectorELNS0_4arch9wavefront6targetE0EEEvT1_.kd
    .uniform_work_group_size: 1
    .uses_dynamic_stack: false
    .vgpr_count:     0
    .vgpr_spill_count: 0
    .wavefront_size: 32
  - .args:
      - .offset:         0
        .size:           32
        .value_kind:     by_value
    .group_segment_fixed_size: 0
    .kernarg_segment_align: 8
    .kernarg_segment_size: 32
    .language:       OpenCL C
    .language_version:
      - 2
      - 0
    .max_flat_workgroup_size: 256
    .name:           _ZN7rocprim17ROCPRIM_400000_NS6detail17trampoline_kernelINS0_14default_configENS1_20scan_config_selectorIjEEZZNS1_9scan_implILNS1_25lookback_scan_determinismE0ELb1ELb1ES3_PjS8_jN6hipcub16HIPCUB_304000_NS3SumEjEEDaPvRmT3_T4_T5_mT6_P12ihipStream_tbENKUlT_T0_E_clISt17integral_constantIbLb0EESP_EEDaSK_SL_EUlSK_E0_NS1_11comp_targetILNS1_3genE10ELNS1_11target_archE1201ELNS1_3gpuE5ELNS1_3repE0EEENS1_30default_config_static_selectorELNS0_4arch9wavefront6targetE0EEEvT1_
    .private_segment_fixed_size: 0
    .sgpr_count:     0
    .sgpr_spill_count: 0
    .symbol:         _ZN7rocprim17ROCPRIM_400000_NS6detail17trampoline_kernelINS0_14default_configENS1_20scan_config_selectorIjEEZZNS1_9scan_implILNS1_25lookback_scan_determinismE0ELb1ELb1ES3_PjS8_jN6hipcub16HIPCUB_304000_NS3SumEjEEDaPvRmT3_T4_T5_mT6_P12ihipStream_tbENKUlT_T0_E_clISt17integral_constantIbLb0EESP_EEDaSK_SL_EUlSK_E0_NS1_11comp_targetILNS1_3genE10ELNS1_11target_archE1201ELNS1_3gpuE5ELNS1_3repE0EEENS1_30default_config_static_selectorELNS0_4arch9wavefront6targetE0EEEvT1_.kd
    .uniform_work_group_size: 1
    .uses_dynamic_stack: false
    .vgpr_count:     0
    .vgpr_spill_count: 0
    .wavefront_size: 32
  - .args:
      - .offset:         0
        .size:           32
        .value_kind:     by_value
    .group_segment_fixed_size: 0
    .kernarg_segment_align: 8
    .kernarg_segment_size: 32
    .language:       OpenCL C
    .language_version:
      - 2
      - 0
    .max_flat_workgroup_size: 256
    .name:           _ZN7rocprim17ROCPRIM_400000_NS6detail17trampoline_kernelINS0_14default_configENS1_20scan_config_selectorIjEEZZNS1_9scan_implILNS1_25lookback_scan_determinismE0ELb1ELb1ES3_PjS8_jN6hipcub16HIPCUB_304000_NS3SumEjEEDaPvRmT3_T4_T5_mT6_P12ihipStream_tbENKUlT_T0_E_clISt17integral_constantIbLb0EESP_EEDaSK_SL_EUlSK_E0_NS1_11comp_targetILNS1_3genE10ELNS1_11target_archE1200ELNS1_3gpuE4ELNS1_3repE0EEENS1_30default_config_static_selectorELNS0_4arch9wavefront6targetE0EEEvT1_
    .private_segment_fixed_size: 0
    .sgpr_count:     0
    .sgpr_spill_count: 0
    .symbol:         _ZN7rocprim17ROCPRIM_400000_NS6detail17trampoline_kernelINS0_14default_configENS1_20scan_config_selectorIjEEZZNS1_9scan_implILNS1_25lookback_scan_determinismE0ELb1ELb1ES3_PjS8_jN6hipcub16HIPCUB_304000_NS3SumEjEEDaPvRmT3_T4_T5_mT6_P12ihipStream_tbENKUlT_T0_E_clISt17integral_constantIbLb0EESP_EEDaSK_SL_EUlSK_E0_NS1_11comp_targetILNS1_3genE10ELNS1_11target_archE1200ELNS1_3gpuE4ELNS1_3repE0EEENS1_30default_config_static_selectorELNS0_4arch9wavefront6targetE0EEEvT1_.kd
    .uniform_work_group_size: 1
    .uses_dynamic_stack: false
    .vgpr_count:     0
    .vgpr_spill_count: 0
    .wavefront_size: 32
  - .args:
      - .offset:         0
        .size:           32
        .value_kind:     by_value
    .group_segment_fixed_size: 0
    .kernarg_segment_align: 8
    .kernarg_segment_size: 32
    .language:       OpenCL C
    .language_version:
      - 2
      - 0
    .max_flat_workgroup_size: 256
    .name:           _ZN7rocprim17ROCPRIM_400000_NS6detail17trampoline_kernelINS0_14default_configENS1_20scan_config_selectorIjEEZZNS1_9scan_implILNS1_25lookback_scan_determinismE0ELb1ELb1ES3_PjS8_jN6hipcub16HIPCUB_304000_NS3SumEjEEDaPvRmT3_T4_T5_mT6_P12ihipStream_tbENKUlT_T0_E_clISt17integral_constantIbLb0EESP_EEDaSK_SL_EUlSK_E0_NS1_11comp_targetILNS1_3genE9ELNS1_11target_archE1100ELNS1_3gpuE3ELNS1_3repE0EEENS1_30default_config_static_selectorELNS0_4arch9wavefront6targetE0EEEvT1_
    .private_segment_fixed_size: 0
    .sgpr_count:     0
    .sgpr_spill_count: 0
    .symbol:         _ZN7rocprim17ROCPRIM_400000_NS6detail17trampoline_kernelINS0_14default_configENS1_20scan_config_selectorIjEEZZNS1_9scan_implILNS1_25lookback_scan_determinismE0ELb1ELb1ES3_PjS8_jN6hipcub16HIPCUB_304000_NS3SumEjEEDaPvRmT3_T4_T5_mT6_P12ihipStream_tbENKUlT_T0_E_clISt17integral_constantIbLb0EESP_EEDaSK_SL_EUlSK_E0_NS1_11comp_targetILNS1_3genE9ELNS1_11target_archE1100ELNS1_3gpuE3ELNS1_3repE0EEENS1_30default_config_static_selectorELNS0_4arch9wavefront6targetE0EEEvT1_.kd
    .uniform_work_group_size: 1
    .uses_dynamic_stack: false
    .vgpr_count:     0
    .vgpr_spill_count: 0
    .wavefront_size: 32
  - .args:
      - .offset:         0
        .size:           32
        .value_kind:     by_value
    .group_segment_fixed_size: 0
    .kernarg_segment_align: 8
    .kernarg_segment_size: 32
    .language:       OpenCL C
    .language_version:
      - 2
      - 0
    .max_flat_workgroup_size: 64
    .name:           _ZN7rocprim17ROCPRIM_400000_NS6detail17trampoline_kernelINS0_14default_configENS1_20scan_config_selectorIjEEZZNS1_9scan_implILNS1_25lookback_scan_determinismE0ELb1ELb1ES3_PjS8_jN6hipcub16HIPCUB_304000_NS3SumEjEEDaPvRmT3_T4_T5_mT6_P12ihipStream_tbENKUlT_T0_E_clISt17integral_constantIbLb0EESP_EEDaSK_SL_EUlSK_E0_NS1_11comp_targetILNS1_3genE8ELNS1_11target_archE1030ELNS1_3gpuE2ELNS1_3repE0EEENS1_30default_config_static_selectorELNS0_4arch9wavefront6targetE0EEEvT1_
    .private_segment_fixed_size: 0
    .sgpr_count:     0
    .sgpr_spill_count: 0
    .symbol:         _ZN7rocprim17ROCPRIM_400000_NS6detail17trampoline_kernelINS0_14default_configENS1_20scan_config_selectorIjEEZZNS1_9scan_implILNS1_25lookback_scan_determinismE0ELb1ELb1ES3_PjS8_jN6hipcub16HIPCUB_304000_NS3SumEjEEDaPvRmT3_T4_T5_mT6_P12ihipStream_tbENKUlT_T0_E_clISt17integral_constantIbLb0EESP_EEDaSK_SL_EUlSK_E0_NS1_11comp_targetILNS1_3genE8ELNS1_11target_archE1030ELNS1_3gpuE2ELNS1_3repE0EEENS1_30default_config_static_selectorELNS0_4arch9wavefront6targetE0EEEvT1_.kd
    .uniform_work_group_size: 1
    .uses_dynamic_stack: false
    .vgpr_count:     0
    .vgpr_spill_count: 0
    .wavefront_size: 32
  - .args:
      - .address_space:  global
        .offset:         0
        .size:           8
        .value_kind:     global_buffer
      - .offset:         8
        .size:           4
        .value_kind:     by_value
      - .address_space:  global
        .offset:         16
        .size:           8
        .value_kind:     global_buffer
      - .offset:         24
        .size:           4
        .value_kind:     by_value
      - .address_space:  global
        .offset:         32
        .size:           8
        .value_kind:     global_buffer
      - .offset:         40
        .size:           4
        .value_kind:     hidden_block_count_x
      - .offset:         44
        .size:           4
        .value_kind:     hidden_block_count_y
      - .offset:         48
        .size:           4
        .value_kind:     hidden_block_count_z
      - .offset:         52
        .size:           2
        .value_kind:     hidden_group_size_x
      - .offset:         54
        .size:           2
        .value_kind:     hidden_group_size_y
      - .offset:         56
        .size:           2
        .value_kind:     hidden_group_size_z
      - .offset:         58
        .size:           2
        .value_kind:     hidden_remainder_x
      - .offset:         60
        .size:           2
        .value_kind:     hidden_remainder_y
      - .offset:         62
        .size:           2
        .value_kind:     hidden_remainder_z
      - .offset:         80
        .size:           8
        .value_kind:     hidden_global_offset_x
      - .offset:         88
        .size:           8
        .value_kind:     hidden_global_offset_y
      - .offset:         96
        .size:           8
        .value_kind:     hidden_global_offset_z
      - .offset:         104
        .size:           2
        .value_kind:     hidden_grid_dims
    .group_segment_fixed_size: 0
    .kernarg_segment_align: 8
    .kernarg_segment_size: 296
    .language:       OpenCL C
    .language_version:
      - 2
      - 0
    .max_flat_workgroup_size: 256
    .name:           _ZN7rocprim17ROCPRIM_400000_NS6detail31init_lookback_scan_state_kernelINS1_19lookback_scan_stateIjLb1ELb1EEENS1_16block_id_wrapperIjLb1EEEEEvT_jT0_jPNS7_10value_typeE
    .private_segment_fixed_size: 0
    .sgpr_count:     14
    .sgpr_spill_count: 0
    .symbol:         _ZN7rocprim17ROCPRIM_400000_NS6detail31init_lookback_scan_state_kernelINS1_19lookback_scan_stateIjLb1ELb1EEENS1_16block_id_wrapperIjLb1EEEEEvT_jT0_jPNS7_10value_typeE.kd
    .uniform_work_group_size: 1
    .uses_dynamic_stack: false
    .vgpr_count:     5
    .vgpr_spill_count: 0
    .wavefront_size: 32
  - .args:
      - .offset:         0
        .size:           96
        .value_kind:     by_value
    .group_segment_fixed_size: 0
    .kernarg_segment_align: 8
    .kernarg_segment_size: 96
    .language:       OpenCL C
    .language_version:
      - 2
      - 0
    .max_flat_workgroup_size: 256
    .name:           _ZN7rocprim17ROCPRIM_400000_NS6detail17trampoline_kernelINS0_14default_configENS1_20scan_config_selectorIjEEZZNS1_9scan_implILNS1_25lookback_scan_determinismE0ELb1ELb1ES3_PjS8_jN6hipcub16HIPCUB_304000_NS3SumEjEEDaPvRmT3_T4_T5_mT6_P12ihipStream_tbENKUlT_T0_E_clISt17integral_constantIbLb1EESP_EEDaSK_SL_EUlSK_E_NS1_11comp_targetILNS1_3genE0ELNS1_11target_archE4294967295ELNS1_3gpuE0ELNS1_3repE0EEENS1_30default_config_static_selectorELNS0_4arch9wavefront6targetE0EEEvT1_
    .private_segment_fixed_size: 0
    .sgpr_count:     0
    .sgpr_spill_count: 0
    .symbol:         _ZN7rocprim17ROCPRIM_400000_NS6detail17trampoline_kernelINS0_14default_configENS1_20scan_config_selectorIjEEZZNS1_9scan_implILNS1_25lookback_scan_determinismE0ELb1ELb1ES3_PjS8_jN6hipcub16HIPCUB_304000_NS3SumEjEEDaPvRmT3_T4_T5_mT6_P12ihipStream_tbENKUlT_T0_E_clISt17integral_constantIbLb1EESP_EEDaSK_SL_EUlSK_E_NS1_11comp_targetILNS1_3genE0ELNS1_11target_archE4294967295ELNS1_3gpuE0ELNS1_3repE0EEENS1_30default_config_static_selectorELNS0_4arch9wavefront6targetE0EEEvT1_.kd
    .uniform_work_group_size: 1
    .uses_dynamic_stack: false
    .vgpr_count:     0
    .vgpr_spill_count: 0
    .wavefront_size: 32
  - .args:
      - .offset:         0
        .size:           96
        .value_kind:     by_value
    .group_segment_fixed_size: 0
    .kernarg_segment_align: 8
    .kernarg_segment_size: 96
    .language:       OpenCL C
    .language_version:
      - 2
      - 0
    .max_flat_workgroup_size: 256
    .name:           _ZN7rocprim17ROCPRIM_400000_NS6detail17trampoline_kernelINS0_14default_configENS1_20scan_config_selectorIjEEZZNS1_9scan_implILNS1_25lookback_scan_determinismE0ELb1ELb1ES3_PjS8_jN6hipcub16HIPCUB_304000_NS3SumEjEEDaPvRmT3_T4_T5_mT6_P12ihipStream_tbENKUlT_T0_E_clISt17integral_constantIbLb1EESP_EEDaSK_SL_EUlSK_E_NS1_11comp_targetILNS1_3genE5ELNS1_11target_archE942ELNS1_3gpuE9ELNS1_3repE0EEENS1_30default_config_static_selectorELNS0_4arch9wavefront6targetE0EEEvT1_
    .private_segment_fixed_size: 0
    .sgpr_count:     0
    .sgpr_spill_count: 0
    .symbol:         _ZN7rocprim17ROCPRIM_400000_NS6detail17trampoline_kernelINS0_14default_configENS1_20scan_config_selectorIjEEZZNS1_9scan_implILNS1_25lookback_scan_determinismE0ELb1ELb1ES3_PjS8_jN6hipcub16HIPCUB_304000_NS3SumEjEEDaPvRmT3_T4_T5_mT6_P12ihipStream_tbENKUlT_T0_E_clISt17integral_constantIbLb1EESP_EEDaSK_SL_EUlSK_E_NS1_11comp_targetILNS1_3genE5ELNS1_11target_archE942ELNS1_3gpuE9ELNS1_3repE0EEENS1_30default_config_static_selectorELNS0_4arch9wavefront6targetE0EEEvT1_.kd
    .uniform_work_group_size: 1
    .uses_dynamic_stack: false
    .vgpr_count:     0
    .vgpr_spill_count: 0
    .wavefront_size: 32
  - .args:
      - .offset:         0
        .size:           96
        .value_kind:     by_value
    .group_segment_fixed_size: 0
    .kernarg_segment_align: 8
    .kernarg_segment_size: 96
    .language:       OpenCL C
    .language_version:
      - 2
      - 0
    .max_flat_workgroup_size: 128
    .name:           _ZN7rocprim17ROCPRIM_400000_NS6detail17trampoline_kernelINS0_14default_configENS1_20scan_config_selectorIjEEZZNS1_9scan_implILNS1_25lookback_scan_determinismE0ELb1ELb1ES3_PjS8_jN6hipcub16HIPCUB_304000_NS3SumEjEEDaPvRmT3_T4_T5_mT6_P12ihipStream_tbENKUlT_T0_E_clISt17integral_constantIbLb1EESP_EEDaSK_SL_EUlSK_E_NS1_11comp_targetILNS1_3genE4ELNS1_11target_archE910ELNS1_3gpuE8ELNS1_3repE0EEENS1_30default_config_static_selectorELNS0_4arch9wavefront6targetE0EEEvT1_
    .private_segment_fixed_size: 0
    .sgpr_count:     0
    .sgpr_spill_count: 0
    .symbol:         _ZN7rocprim17ROCPRIM_400000_NS6detail17trampoline_kernelINS0_14default_configENS1_20scan_config_selectorIjEEZZNS1_9scan_implILNS1_25lookback_scan_determinismE0ELb1ELb1ES3_PjS8_jN6hipcub16HIPCUB_304000_NS3SumEjEEDaPvRmT3_T4_T5_mT6_P12ihipStream_tbENKUlT_T0_E_clISt17integral_constantIbLb1EESP_EEDaSK_SL_EUlSK_E_NS1_11comp_targetILNS1_3genE4ELNS1_11target_archE910ELNS1_3gpuE8ELNS1_3repE0EEENS1_30default_config_static_selectorELNS0_4arch9wavefront6targetE0EEEvT1_.kd
    .uniform_work_group_size: 1
    .uses_dynamic_stack: false
    .vgpr_count:     0
    .vgpr_spill_count: 0
    .wavefront_size: 32
  - .args:
      - .offset:         0
        .size:           96
        .value_kind:     by_value
    .group_segment_fixed_size: 0
    .kernarg_segment_align: 8
    .kernarg_segment_size: 96
    .language:       OpenCL C
    .language_version:
      - 2
      - 0
    .max_flat_workgroup_size: 256
    .name:           _ZN7rocprim17ROCPRIM_400000_NS6detail17trampoline_kernelINS0_14default_configENS1_20scan_config_selectorIjEEZZNS1_9scan_implILNS1_25lookback_scan_determinismE0ELb1ELb1ES3_PjS8_jN6hipcub16HIPCUB_304000_NS3SumEjEEDaPvRmT3_T4_T5_mT6_P12ihipStream_tbENKUlT_T0_E_clISt17integral_constantIbLb1EESP_EEDaSK_SL_EUlSK_E_NS1_11comp_targetILNS1_3genE3ELNS1_11target_archE908ELNS1_3gpuE7ELNS1_3repE0EEENS1_30default_config_static_selectorELNS0_4arch9wavefront6targetE0EEEvT1_
    .private_segment_fixed_size: 0
    .sgpr_count:     0
    .sgpr_spill_count: 0
    .symbol:         _ZN7rocprim17ROCPRIM_400000_NS6detail17trampoline_kernelINS0_14default_configENS1_20scan_config_selectorIjEEZZNS1_9scan_implILNS1_25lookback_scan_determinismE0ELb1ELb1ES3_PjS8_jN6hipcub16HIPCUB_304000_NS3SumEjEEDaPvRmT3_T4_T5_mT6_P12ihipStream_tbENKUlT_T0_E_clISt17integral_constantIbLb1EESP_EEDaSK_SL_EUlSK_E_NS1_11comp_targetILNS1_3genE3ELNS1_11target_archE908ELNS1_3gpuE7ELNS1_3repE0EEENS1_30default_config_static_selectorELNS0_4arch9wavefront6targetE0EEEvT1_.kd
    .uniform_work_group_size: 1
    .uses_dynamic_stack: false
    .vgpr_count:     0
    .vgpr_spill_count: 0
    .wavefront_size: 32
  - .args:
      - .offset:         0
        .size:           96
        .value_kind:     by_value
    .group_segment_fixed_size: 0
    .kernarg_segment_align: 8
    .kernarg_segment_size: 96
    .language:       OpenCL C
    .language_version:
      - 2
      - 0
    .max_flat_workgroup_size: 256
    .name:           _ZN7rocprim17ROCPRIM_400000_NS6detail17trampoline_kernelINS0_14default_configENS1_20scan_config_selectorIjEEZZNS1_9scan_implILNS1_25lookback_scan_determinismE0ELb1ELb1ES3_PjS8_jN6hipcub16HIPCUB_304000_NS3SumEjEEDaPvRmT3_T4_T5_mT6_P12ihipStream_tbENKUlT_T0_E_clISt17integral_constantIbLb1EESP_EEDaSK_SL_EUlSK_E_NS1_11comp_targetILNS1_3genE2ELNS1_11target_archE906ELNS1_3gpuE6ELNS1_3repE0EEENS1_30default_config_static_selectorELNS0_4arch9wavefront6targetE0EEEvT1_
    .private_segment_fixed_size: 0
    .sgpr_count:     0
    .sgpr_spill_count: 0
    .symbol:         _ZN7rocprim17ROCPRIM_400000_NS6detail17trampoline_kernelINS0_14default_configENS1_20scan_config_selectorIjEEZZNS1_9scan_implILNS1_25lookback_scan_determinismE0ELb1ELb1ES3_PjS8_jN6hipcub16HIPCUB_304000_NS3SumEjEEDaPvRmT3_T4_T5_mT6_P12ihipStream_tbENKUlT_T0_E_clISt17integral_constantIbLb1EESP_EEDaSK_SL_EUlSK_E_NS1_11comp_targetILNS1_3genE2ELNS1_11target_archE906ELNS1_3gpuE6ELNS1_3repE0EEENS1_30default_config_static_selectorELNS0_4arch9wavefront6targetE0EEEvT1_.kd
    .uniform_work_group_size: 1
    .uses_dynamic_stack: false
    .vgpr_count:     0
    .vgpr_spill_count: 0
    .wavefront_size: 32
  - .args:
      - .offset:         0
        .size:           96
        .value_kind:     by_value
    .group_segment_fixed_size: 0
    .kernarg_segment_align: 8
    .kernarg_segment_size: 96
    .language:       OpenCL C
    .language_version:
      - 2
      - 0
    .max_flat_workgroup_size: 256
    .name:           _ZN7rocprim17ROCPRIM_400000_NS6detail17trampoline_kernelINS0_14default_configENS1_20scan_config_selectorIjEEZZNS1_9scan_implILNS1_25lookback_scan_determinismE0ELb1ELb1ES3_PjS8_jN6hipcub16HIPCUB_304000_NS3SumEjEEDaPvRmT3_T4_T5_mT6_P12ihipStream_tbENKUlT_T0_E_clISt17integral_constantIbLb1EESP_EEDaSK_SL_EUlSK_E_NS1_11comp_targetILNS1_3genE10ELNS1_11target_archE1201ELNS1_3gpuE5ELNS1_3repE0EEENS1_30default_config_static_selectorELNS0_4arch9wavefront6targetE0EEEvT1_
    .private_segment_fixed_size: 0
    .sgpr_count:     0
    .sgpr_spill_count: 0
    .symbol:         _ZN7rocprim17ROCPRIM_400000_NS6detail17trampoline_kernelINS0_14default_configENS1_20scan_config_selectorIjEEZZNS1_9scan_implILNS1_25lookback_scan_determinismE0ELb1ELb1ES3_PjS8_jN6hipcub16HIPCUB_304000_NS3SumEjEEDaPvRmT3_T4_T5_mT6_P12ihipStream_tbENKUlT_T0_E_clISt17integral_constantIbLb1EESP_EEDaSK_SL_EUlSK_E_NS1_11comp_targetILNS1_3genE10ELNS1_11target_archE1201ELNS1_3gpuE5ELNS1_3repE0EEENS1_30default_config_static_selectorELNS0_4arch9wavefront6targetE0EEEvT1_.kd
    .uniform_work_group_size: 1
    .uses_dynamic_stack: false
    .vgpr_count:     0
    .vgpr_spill_count: 0
    .wavefront_size: 32
  - .args:
      - .offset:         0
        .size:           96
        .value_kind:     by_value
    .group_segment_fixed_size: 0
    .kernarg_segment_align: 8
    .kernarg_segment_size: 96
    .language:       OpenCL C
    .language_version:
      - 2
      - 0
    .max_flat_workgroup_size: 256
    .name:           _ZN7rocprim17ROCPRIM_400000_NS6detail17trampoline_kernelINS0_14default_configENS1_20scan_config_selectorIjEEZZNS1_9scan_implILNS1_25lookback_scan_determinismE0ELb1ELb1ES3_PjS8_jN6hipcub16HIPCUB_304000_NS3SumEjEEDaPvRmT3_T4_T5_mT6_P12ihipStream_tbENKUlT_T0_E_clISt17integral_constantIbLb1EESP_EEDaSK_SL_EUlSK_E_NS1_11comp_targetILNS1_3genE10ELNS1_11target_archE1200ELNS1_3gpuE4ELNS1_3repE0EEENS1_30default_config_static_selectorELNS0_4arch9wavefront6targetE0EEEvT1_
    .private_segment_fixed_size: 0
    .sgpr_count:     0
    .sgpr_spill_count: 0
    .symbol:         _ZN7rocprim17ROCPRIM_400000_NS6detail17trampoline_kernelINS0_14default_configENS1_20scan_config_selectorIjEEZZNS1_9scan_implILNS1_25lookback_scan_determinismE0ELb1ELb1ES3_PjS8_jN6hipcub16HIPCUB_304000_NS3SumEjEEDaPvRmT3_T4_T5_mT6_P12ihipStream_tbENKUlT_T0_E_clISt17integral_constantIbLb1EESP_EEDaSK_SL_EUlSK_E_NS1_11comp_targetILNS1_3genE10ELNS1_11target_archE1200ELNS1_3gpuE4ELNS1_3repE0EEENS1_30default_config_static_selectorELNS0_4arch9wavefront6targetE0EEEvT1_.kd
    .uniform_work_group_size: 1
    .uses_dynamic_stack: false
    .vgpr_count:     0
    .vgpr_spill_count: 0
    .wavefront_size: 32
  - .args:
      - .offset:         0
        .size:           96
        .value_kind:     by_value
    .group_segment_fixed_size: 0
    .kernarg_segment_align: 8
    .kernarg_segment_size: 96
    .language:       OpenCL C
    .language_version:
      - 2
      - 0
    .max_flat_workgroup_size: 256
    .name:           _ZN7rocprim17ROCPRIM_400000_NS6detail17trampoline_kernelINS0_14default_configENS1_20scan_config_selectorIjEEZZNS1_9scan_implILNS1_25lookback_scan_determinismE0ELb1ELb1ES3_PjS8_jN6hipcub16HIPCUB_304000_NS3SumEjEEDaPvRmT3_T4_T5_mT6_P12ihipStream_tbENKUlT_T0_E_clISt17integral_constantIbLb1EESP_EEDaSK_SL_EUlSK_E_NS1_11comp_targetILNS1_3genE9ELNS1_11target_archE1100ELNS1_3gpuE3ELNS1_3repE0EEENS1_30default_config_static_selectorELNS0_4arch9wavefront6targetE0EEEvT1_
    .private_segment_fixed_size: 0
    .sgpr_count:     0
    .sgpr_spill_count: 0
    .symbol:         _ZN7rocprim17ROCPRIM_400000_NS6detail17trampoline_kernelINS0_14default_configENS1_20scan_config_selectorIjEEZZNS1_9scan_implILNS1_25lookback_scan_determinismE0ELb1ELb1ES3_PjS8_jN6hipcub16HIPCUB_304000_NS3SumEjEEDaPvRmT3_T4_T5_mT6_P12ihipStream_tbENKUlT_T0_E_clISt17integral_constantIbLb1EESP_EEDaSK_SL_EUlSK_E_NS1_11comp_targetILNS1_3genE9ELNS1_11target_archE1100ELNS1_3gpuE3ELNS1_3repE0EEENS1_30default_config_static_selectorELNS0_4arch9wavefront6targetE0EEEvT1_.kd
    .uniform_work_group_size: 1
    .uses_dynamic_stack: false
    .vgpr_count:     0
    .vgpr_spill_count: 0
    .wavefront_size: 32
  - .args:
      - .offset:         0
        .size:           96
        .value_kind:     by_value
    .group_segment_fixed_size: 0
    .kernarg_segment_align: 8
    .kernarg_segment_size: 96
    .language:       OpenCL C
    .language_version:
      - 2
      - 0
    .max_flat_workgroup_size: 64
    .name:           _ZN7rocprim17ROCPRIM_400000_NS6detail17trampoline_kernelINS0_14default_configENS1_20scan_config_selectorIjEEZZNS1_9scan_implILNS1_25lookback_scan_determinismE0ELb1ELb1ES3_PjS8_jN6hipcub16HIPCUB_304000_NS3SumEjEEDaPvRmT3_T4_T5_mT6_P12ihipStream_tbENKUlT_T0_E_clISt17integral_constantIbLb1EESP_EEDaSK_SL_EUlSK_E_NS1_11comp_targetILNS1_3genE8ELNS1_11target_archE1030ELNS1_3gpuE2ELNS1_3repE0EEENS1_30default_config_static_selectorELNS0_4arch9wavefront6targetE0EEEvT1_
    .private_segment_fixed_size: 0
    .sgpr_count:     0
    .sgpr_spill_count: 0
    .symbol:         _ZN7rocprim17ROCPRIM_400000_NS6detail17trampoline_kernelINS0_14default_configENS1_20scan_config_selectorIjEEZZNS1_9scan_implILNS1_25lookback_scan_determinismE0ELb1ELb1ES3_PjS8_jN6hipcub16HIPCUB_304000_NS3SumEjEEDaPvRmT3_T4_T5_mT6_P12ihipStream_tbENKUlT_T0_E_clISt17integral_constantIbLb1EESP_EEDaSK_SL_EUlSK_E_NS1_11comp_targetILNS1_3genE8ELNS1_11target_archE1030ELNS1_3gpuE2ELNS1_3repE0EEENS1_30default_config_static_selectorELNS0_4arch9wavefront6targetE0EEEvT1_.kd
    .uniform_work_group_size: 1
    .uses_dynamic_stack: false
    .vgpr_count:     0
    .vgpr_spill_count: 0
    .wavefront_size: 32
  - .args:
      - .offset:         0
        .size:           32
        .value_kind:     by_value
    .group_segment_fixed_size: 14336
    .kernarg_segment_align: 8
    .kernarg_segment_size: 32
    .language:       OpenCL C
    .language_version:
      - 2
      - 0
    .max_flat_workgroup_size: 256
    .name:           _ZN7rocprim17ROCPRIM_400000_NS6detail17trampoline_kernelINS0_14default_configENS1_20scan_config_selectorIjEEZZNS1_9scan_implILNS1_25lookback_scan_determinismE0ELb1ELb1ES3_PjS8_jN6hipcub16HIPCUB_304000_NS3SumEjEEDaPvRmT3_T4_T5_mT6_P12ihipStream_tbENKUlT_T0_E_clISt17integral_constantIbLb1EESP_EEDaSK_SL_EUlSK_E0_NS1_11comp_targetILNS1_3genE0ELNS1_11target_archE4294967295ELNS1_3gpuE0ELNS1_3repE0EEENS1_30default_config_static_selectorELNS0_4arch9wavefront6targetE0EEEvT1_
    .private_segment_fixed_size: 0
    .sgpr_count:     22
    .sgpr_spill_count: 0
    .symbol:         _ZN7rocprim17ROCPRIM_400000_NS6detail17trampoline_kernelINS0_14default_configENS1_20scan_config_selectorIjEEZZNS1_9scan_implILNS1_25lookback_scan_determinismE0ELb1ELb1ES3_PjS8_jN6hipcub16HIPCUB_304000_NS3SumEjEEDaPvRmT3_T4_T5_mT6_P12ihipStream_tbENKUlT_T0_E_clISt17integral_constantIbLb1EESP_EEDaSK_SL_EUlSK_E0_NS1_11comp_targetILNS1_3genE0ELNS1_11target_archE4294967295ELNS1_3gpuE0ELNS1_3repE0EEENS1_30default_config_static_selectorELNS0_4arch9wavefront6targetE0EEEvT1_.kd
    .uniform_work_group_size: 1
    .uses_dynamic_stack: false
    .vgpr_count:     22
    .vgpr_spill_count: 0
    .wavefront_size: 32
  - .args:
      - .offset:         0
        .size:           32
        .value_kind:     by_value
    .group_segment_fixed_size: 0
    .kernarg_segment_align: 8
    .kernarg_segment_size: 32
    .language:       OpenCL C
    .language_version:
      - 2
      - 0
    .max_flat_workgroup_size: 256
    .name:           _ZN7rocprim17ROCPRIM_400000_NS6detail17trampoline_kernelINS0_14default_configENS1_20scan_config_selectorIjEEZZNS1_9scan_implILNS1_25lookback_scan_determinismE0ELb1ELb1ES3_PjS8_jN6hipcub16HIPCUB_304000_NS3SumEjEEDaPvRmT3_T4_T5_mT6_P12ihipStream_tbENKUlT_T0_E_clISt17integral_constantIbLb1EESP_EEDaSK_SL_EUlSK_E0_NS1_11comp_targetILNS1_3genE5ELNS1_11target_archE942ELNS1_3gpuE9ELNS1_3repE0EEENS1_30default_config_static_selectorELNS0_4arch9wavefront6targetE0EEEvT1_
    .private_segment_fixed_size: 0
    .sgpr_count:     0
    .sgpr_spill_count: 0
    .symbol:         _ZN7rocprim17ROCPRIM_400000_NS6detail17trampoline_kernelINS0_14default_configENS1_20scan_config_selectorIjEEZZNS1_9scan_implILNS1_25lookback_scan_determinismE0ELb1ELb1ES3_PjS8_jN6hipcub16HIPCUB_304000_NS3SumEjEEDaPvRmT3_T4_T5_mT6_P12ihipStream_tbENKUlT_T0_E_clISt17integral_constantIbLb1EESP_EEDaSK_SL_EUlSK_E0_NS1_11comp_targetILNS1_3genE5ELNS1_11target_archE942ELNS1_3gpuE9ELNS1_3repE0EEENS1_30default_config_static_selectorELNS0_4arch9wavefront6targetE0EEEvT1_.kd
    .uniform_work_group_size: 1
    .uses_dynamic_stack: false
    .vgpr_count:     0
    .vgpr_spill_count: 0
    .wavefront_size: 32
  - .args:
      - .offset:         0
        .size:           32
        .value_kind:     by_value
    .group_segment_fixed_size: 0
    .kernarg_segment_align: 8
    .kernarg_segment_size: 32
    .language:       OpenCL C
    .language_version:
      - 2
      - 0
    .max_flat_workgroup_size: 128
    .name:           _ZN7rocprim17ROCPRIM_400000_NS6detail17trampoline_kernelINS0_14default_configENS1_20scan_config_selectorIjEEZZNS1_9scan_implILNS1_25lookback_scan_determinismE0ELb1ELb1ES3_PjS8_jN6hipcub16HIPCUB_304000_NS3SumEjEEDaPvRmT3_T4_T5_mT6_P12ihipStream_tbENKUlT_T0_E_clISt17integral_constantIbLb1EESP_EEDaSK_SL_EUlSK_E0_NS1_11comp_targetILNS1_3genE4ELNS1_11target_archE910ELNS1_3gpuE8ELNS1_3repE0EEENS1_30default_config_static_selectorELNS0_4arch9wavefront6targetE0EEEvT1_
    .private_segment_fixed_size: 0
    .sgpr_count:     0
    .sgpr_spill_count: 0
    .symbol:         _ZN7rocprim17ROCPRIM_400000_NS6detail17trampoline_kernelINS0_14default_configENS1_20scan_config_selectorIjEEZZNS1_9scan_implILNS1_25lookback_scan_determinismE0ELb1ELb1ES3_PjS8_jN6hipcub16HIPCUB_304000_NS3SumEjEEDaPvRmT3_T4_T5_mT6_P12ihipStream_tbENKUlT_T0_E_clISt17integral_constantIbLb1EESP_EEDaSK_SL_EUlSK_E0_NS1_11comp_targetILNS1_3genE4ELNS1_11target_archE910ELNS1_3gpuE8ELNS1_3repE0EEENS1_30default_config_static_selectorELNS0_4arch9wavefront6targetE0EEEvT1_.kd
    .uniform_work_group_size: 1
    .uses_dynamic_stack: false
    .vgpr_count:     0
    .vgpr_spill_count: 0
    .wavefront_size: 32
  - .args:
      - .offset:         0
        .size:           32
        .value_kind:     by_value
    .group_segment_fixed_size: 0
    .kernarg_segment_align: 8
    .kernarg_segment_size: 32
    .language:       OpenCL C
    .language_version:
      - 2
      - 0
    .max_flat_workgroup_size: 256
    .name:           _ZN7rocprim17ROCPRIM_400000_NS6detail17trampoline_kernelINS0_14default_configENS1_20scan_config_selectorIjEEZZNS1_9scan_implILNS1_25lookback_scan_determinismE0ELb1ELb1ES3_PjS8_jN6hipcub16HIPCUB_304000_NS3SumEjEEDaPvRmT3_T4_T5_mT6_P12ihipStream_tbENKUlT_T0_E_clISt17integral_constantIbLb1EESP_EEDaSK_SL_EUlSK_E0_NS1_11comp_targetILNS1_3genE3ELNS1_11target_archE908ELNS1_3gpuE7ELNS1_3repE0EEENS1_30default_config_static_selectorELNS0_4arch9wavefront6targetE0EEEvT1_
    .private_segment_fixed_size: 0
    .sgpr_count:     0
    .sgpr_spill_count: 0
    .symbol:         _ZN7rocprim17ROCPRIM_400000_NS6detail17trampoline_kernelINS0_14default_configENS1_20scan_config_selectorIjEEZZNS1_9scan_implILNS1_25lookback_scan_determinismE0ELb1ELb1ES3_PjS8_jN6hipcub16HIPCUB_304000_NS3SumEjEEDaPvRmT3_T4_T5_mT6_P12ihipStream_tbENKUlT_T0_E_clISt17integral_constantIbLb1EESP_EEDaSK_SL_EUlSK_E0_NS1_11comp_targetILNS1_3genE3ELNS1_11target_archE908ELNS1_3gpuE7ELNS1_3repE0EEENS1_30default_config_static_selectorELNS0_4arch9wavefront6targetE0EEEvT1_.kd
    .uniform_work_group_size: 1
    .uses_dynamic_stack: false
    .vgpr_count:     0
    .vgpr_spill_count: 0
    .wavefront_size: 32
  - .args:
      - .offset:         0
        .size:           32
        .value_kind:     by_value
    .group_segment_fixed_size: 0
    .kernarg_segment_align: 8
    .kernarg_segment_size: 32
    .language:       OpenCL C
    .language_version:
      - 2
      - 0
    .max_flat_workgroup_size: 256
    .name:           _ZN7rocprim17ROCPRIM_400000_NS6detail17trampoline_kernelINS0_14default_configENS1_20scan_config_selectorIjEEZZNS1_9scan_implILNS1_25lookback_scan_determinismE0ELb1ELb1ES3_PjS8_jN6hipcub16HIPCUB_304000_NS3SumEjEEDaPvRmT3_T4_T5_mT6_P12ihipStream_tbENKUlT_T0_E_clISt17integral_constantIbLb1EESP_EEDaSK_SL_EUlSK_E0_NS1_11comp_targetILNS1_3genE2ELNS1_11target_archE906ELNS1_3gpuE6ELNS1_3repE0EEENS1_30default_config_static_selectorELNS0_4arch9wavefront6targetE0EEEvT1_
    .private_segment_fixed_size: 0
    .sgpr_count:     0
    .sgpr_spill_count: 0
    .symbol:         _ZN7rocprim17ROCPRIM_400000_NS6detail17trampoline_kernelINS0_14default_configENS1_20scan_config_selectorIjEEZZNS1_9scan_implILNS1_25lookback_scan_determinismE0ELb1ELb1ES3_PjS8_jN6hipcub16HIPCUB_304000_NS3SumEjEEDaPvRmT3_T4_T5_mT6_P12ihipStream_tbENKUlT_T0_E_clISt17integral_constantIbLb1EESP_EEDaSK_SL_EUlSK_E0_NS1_11comp_targetILNS1_3genE2ELNS1_11target_archE906ELNS1_3gpuE6ELNS1_3repE0EEENS1_30default_config_static_selectorELNS0_4arch9wavefront6targetE0EEEvT1_.kd
    .uniform_work_group_size: 1
    .uses_dynamic_stack: false
    .vgpr_count:     0
    .vgpr_spill_count: 0
    .wavefront_size: 32
  - .args:
      - .offset:         0
        .size:           32
        .value_kind:     by_value
    .group_segment_fixed_size: 0
    .kernarg_segment_align: 8
    .kernarg_segment_size: 32
    .language:       OpenCL C
    .language_version:
      - 2
      - 0
    .max_flat_workgroup_size: 256
    .name:           _ZN7rocprim17ROCPRIM_400000_NS6detail17trampoline_kernelINS0_14default_configENS1_20scan_config_selectorIjEEZZNS1_9scan_implILNS1_25lookback_scan_determinismE0ELb1ELb1ES3_PjS8_jN6hipcub16HIPCUB_304000_NS3SumEjEEDaPvRmT3_T4_T5_mT6_P12ihipStream_tbENKUlT_T0_E_clISt17integral_constantIbLb1EESP_EEDaSK_SL_EUlSK_E0_NS1_11comp_targetILNS1_3genE10ELNS1_11target_archE1201ELNS1_3gpuE5ELNS1_3repE0EEENS1_30default_config_static_selectorELNS0_4arch9wavefront6targetE0EEEvT1_
    .private_segment_fixed_size: 0
    .sgpr_count:     0
    .sgpr_spill_count: 0
    .symbol:         _ZN7rocprim17ROCPRIM_400000_NS6detail17trampoline_kernelINS0_14default_configENS1_20scan_config_selectorIjEEZZNS1_9scan_implILNS1_25lookback_scan_determinismE0ELb1ELb1ES3_PjS8_jN6hipcub16HIPCUB_304000_NS3SumEjEEDaPvRmT3_T4_T5_mT6_P12ihipStream_tbENKUlT_T0_E_clISt17integral_constantIbLb1EESP_EEDaSK_SL_EUlSK_E0_NS1_11comp_targetILNS1_3genE10ELNS1_11target_archE1201ELNS1_3gpuE5ELNS1_3repE0EEENS1_30default_config_static_selectorELNS0_4arch9wavefront6targetE0EEEvT1_.kd
    .uniform_work_group_size: 1
    .uses_dynamic_stack: false
    .vgpr_count:     0
    .vgpr_spill_count: 0
    .wavefront_size: 32
  - .args:
      - .offset:         0
        .size:           32
        .value_kind:     by_value
    .group_segment_fixed_size: 0
    .kernarg_segment_align: 8
    .kernarg_segment_size: 32
    .language:       OpenCL C
    .language_version:
      - 2
      - 0
    .max_flat_workgroup_size: 256
    .name:           _ZN7rocprim17ROCPRIM_400000_NS6detail17trampoline_kernelINS0_14default_configENS1_20scan_config_selectorIjEEZZNS1_9scan_implILNS1_25lookback_scan_determinismE0ELb1ELb1ES3_PjS8_jN6hipcub16HIPCUB_304000_NS3SumEjEEDaPvRmT3_T4_T5_mT6_P12ihipStream_tbENKUlT_T0_E_clISt17integral_constantIbLb1EESP_EEDaSK_SL_EUlSK_E0_NS1_11comp_targetILNS1_3genE10ELNS1_11target_archE1200ELNS1_3gpuE4ELNS1_3repE0EEENS1_30default_config_static_selectorELNS0_4arch9wavefront6targetE0EEEvT1_
    .private_segment_fixed_size: 0
    .sgpr_count:     0
    .sgpr_spill_count: 0
    .symbol:         _ZN7rocprim17ROCPRIM_400000_NS6detail17trampoline_kernelINS0_14default_configENS1_20scan_config_selectorIjEEZZNS1_9scan_implILNS1_25lookback_scan_determinismE0ELb1ELb1ES3_PjS8_jN6hipcub16HIPCUB_304000_NS3SumEjEEDaPvRmT3_T4_T5_mT6_P12ihipStream_tbENKUlT_T0_E_clISt17integral_constantIbLb1EESP_EEDaSK_SL_EUlSK_E0_NS1_11comp_targetILNS1_3genE10ELNS1_11target_archE1200ELNS1_3gpuE4ELNS1_3repE0EEENS1_30default_config_static_selectorELNS0_4arch9wavefront6targetE0EEEvT1_.kd
    .uniform_work_group_size: 1
    .uses_dynamic_stack: false
    .vgpr_count:     0
    .vgpr_spill_count: 0
    .wavefront_size: 32
  - .args:
      - .offset:         0
        .size:           32
        .value_kind:     by_value
    .group_segment_fixed_size: 0
    .kernarg_segment_align: 8
    .kernarg_segment_size: 32
    .language:       OpenCL C
    .language_version:
      - 2
      - 0
    .max_flat_workgroup_size: 256
    .name:           _ZN7rocprim17ROCPRIM_400000_NS6detail17trampoline_kernelINS0_14default_configENS1_20scan_config_selectorIjEEZZNS1_9scan_implILNS1_25lookback_scan_determinismE0ELb1ELb1ES3_PjS8_jN6hipcub16HIPCUB_304000_NS3SumEjEEDaPvRmT3_T4_T5_mT6_P12ihipStream_tbENKUlT_T0_E_clISt17integral_constantIbLb1EESP_EEDaSK_SL_EUlSK_E0_NS1_11comp_targetILNS1_3genE9ELNS1_11target_archE1100ELNS1_3gpuE3ELNS1_3repE0EEENS1_30default_config_static_selectorELNS0_4arch9wavefront6targetE0EEEvT1_
    .private_segment_fixed_size: 0
    .sgpr_count:     0
    .sgpr_spill_count: 0
    .symbol:         _ZN7rocprim17ROCPRIM_400000_NS6detail17trampoline_kernelINS0_14default_configENS1_20scan_config_selectorIjEEZZNS1_9scan_implILNS1_25lookback_scan_determinismE0ELb1ELb1ES3_PjS8_jN6hipcub16HIPCUB_304000_NS3SumEjEEDaPvRmT3_T4_T5_mT6_P12ihipStream_tbENKUlT_T0_E_clISt17integral_constantIbLb1EESP_EEDaSK_SL_EUlSK_E0_NS1_11comp_targetILNS1_3genE9ELNS1_11target_archE1100ELNS1_3gpuE3ELNS1_3repE0EEENS1_30default_config_static_selectorELNS0_4arch9wavefront6targetE0EEEvT1_.kd
    .uniform_work_group_size: 1
    .uses_dynamic_stack: false
    .vgpr_count:     0
    .vgpr_spill_count: 0
    .wavefront_size: 32
  - .args:
      - .offset:         0
        .size:           32
        .value_kind:     by_value
    .group_segment_fixed_size: 0
    .kernarg_segment_align: 8
    .kernarg_segment_size: 32
    .language:       OpenCL C
    .language_version:
      - 2
      - 0
    .max_flat_workgroup_size: 64
    .name:           _ZN7rocprim17ROCPRIM_400000_NS6detail17trampoline_kernelINS0_14default_configENS1_20scan_config_selectorIjEEZZNS1_9scan_implILNS1_25lookback_scan_determinismE0ELb1ELb1ES3_PjS8_jN6hipcub16HIPCUB_304000_NS3SumEjEEDaPvRmT3_T4_T5_mT6_P12ihipStream_tbENKUlT_T0_E_clISt17integral_constantIbLb1EESP_EEDaSK_SL_EUlSK_E0_NS1_11comp_targetILNS1_3genE8ELNS1_11target_archE1030ELNS1_3gpuE2ELNS1_3repE0EEENS1_30default_config_static_selectorELNS0_4arch9wavefront6targetE0EEEvT1_
    .private_segment_fixed_size: 0
    .sgpr_count:     0
    .sgpr_spill_count: 0
    .symbol:         _ZN7rocprim17ROCPRIM_400000_NS6detail17trampoline_kernelINS0_14default_configENS1_20scan_config_selectorIjEEZZNS1_9scan_implILNS1_25lookback_scan_determinismE0ELb1ELb1ES3_PjS8_jN6hipcub16HIPCUB_304000_NS3SumEjEEDaPvRmT3_T4_T5_mT6_P12ihipStream_tbENKUlT_T0_E_clISt17integral_constantIbLb1EESP_EEDaSK_SL_EUlSK_E0_NS1_11comp_targetILNS1_3genE8ELNS1_11target_archE1030ELNS1_3gpuE2ELNS1_3repE0EEENS1_30default_config_static_selectorELNS0_4arch9wavefront6targetE0EEEvT1_.kd
    .uniform_work_group_size: 1
    .uses_dynamic_stack: false
    .vgpr_count:     0
    .vgpr_spill_count: 0
    .wavefront_size: 32
  - .args:
      - .address_space:  global
        .offset:         0
        .size:           8
        .value_kind:     global_buffer
      - .offset:         8
        .size:           4
        .value_kind:     by_value
      - .offset:         12
        .size:           1
        .value_kind:     by_value
      - .offset:         16
        .size:           4
        .value_kind:     by_value
      - .address_space:  global
        .offset:         24
        .size:           8
        .value_kind:     global_buffer
      - .offset:         32
        .size:           4
        .value_kind:     hidden_block_count_x
      - .offset:         36
        .size:           4
        .value_kind:     hidden_block_count_y
      - .offset:         40
        .size:           4
        .value_kind:     hidden_block_count_z
      - .offset:         44
        .size:           2
        .value_kind:     hidden_group_size_x
      - .offset:         46
        .size:           2
        .value_kind:     hidden_group_size_y
      - .offset:         48
        .size:           2
        .value_kind:     hidden_group_size_z
      - .offset:         50
        .size:           2
        .value_kind:     hidden_remainder_x
      - .offset:         52
        .size:           2
        .value_kind:     hidden_remainder_y
      - .offset:         54
        .size:           2
        .value_kind:     hidden_remainder_z
      - .offset:         72
        .size:           8
        .value_kind:     hidden_global_offset_x
      - .offset:         80
        .size:           8
        .value_kind:     hidden_global_offset_y
      - .offset:         88
        .size:           8
        .value_kind:     hidden_global_offset_z
      - .offset:         96
        .size:           2
        .value_kind:     hidden_grid_dims
    .group_segment_fixed_size: 0
    .kernarg_segment_align: 8
    .kernarg_segment_size: 288
    .language:       OpenCL C
    .language_version:
      - 2
      - 0
    .max_flat_workgroup_size: 256
    .name:           _ZN7rocprim17ROCPRIM_400000_NS6detail31init_lookback_scan_state_kernelINS1_19lookback_scan_stateIjLb1ELb1EEENS1_16block_id_wrapperIjLb0EEEEEvT_jT0_jPNS7_10value_typeE
    .private_segment_fixed_size: 0
    .sgpr_count:     13
    .sgpr_spill_count: 0
    .symbol:         _ZN7rocprim17ROCPRIM_400000_NS6detail31init_lookback_scan_state_kernelINS1_19lookback_scan_stateIjLb1ELb1EEENS1_16block_id_wrapperIjLb0EEEEEvT_jT0_jPNS7_10value_typeE.kd
    .uniform_work_group_size: 1
    .uses_dynamic_stack: false
    .vgpr_count:     5
    .vgpr_spill_count: 0
    .wavefront_size: 32
  - .args:
      - .offset:         0
        .size:           96
        .value_kind:     by_value
    .group_segment_fixed_size: 0
    .kernarg_segment_align: 8
    .kernarg_segment_size: 96
    .language:       OpenCL C
    .language_version:
      - 2
      - 0
    .max_flat_workgroup_size: 256
    .name:           _ZN7rocprim17ROCPRIM_400000_NS6detail17trampoline_kernelINS0_14default_configENS1_20scan_config_selectorIjEEZZNS1_9scan_implILNS1_25lookback_scan_determinismE0ELb1ELb1ES3_PjS8_jN6hipcub16HIPCUB_304000_NS3SumEjEEDaPvRmT3_T4_T5_mT6_P12ihipStream_tbENKUlT_T0_E_clISt17integral_constantIbLb1EESO_IbLb0EEEEDaSK_SL_EUlSK_E_NS1_11comp_targetILNS1_3genE0ELNS1_11target_archE4294967295ELNS1_3gpuE0ELNS1_3repE0EEENS1_30default_config_static_selectorELNS0_4arch9wavefront6targetE0EEEvT1_
    .private_segment_fixed_size: 0
    .sgpr_count:     0
    .sgpr_spill_count: 0
    .symbol:         _ZN7rocprim17ROCPRIM_400000_NS6detail17trampoline_kernelINS0_14default_configENS1_20scan_config_selectorIjEEZZNS1_9scan_implILNS1_25lookback_scan_determinismE0ELb1ELb1ES3_PjS8_jN6hipcub16HIPCUB_304000_NS3SumEjEEDaPvRmT3_T4_T5_mT6_P12ihipStream_tbENKUlT_T0_E_clISt17integral_constantIbLb1EESO_IbLb0EEEEDaSK_SL_EUlSK_E_NS1_11comp_targetILNS1_3genE0ELNS1_11target_archE4294967295ELNS1_3gpuE0ELNS1_3repE0EEENS1_30default_config_static_selectorELNS0_4arch9wavefront6targetE0EEEvT1_.kd
    .uniform_work_group_size: 1
    .uses_dynamic_stack: false
    .vgpr_count:     0
    .vgpr_spill_count: 0
    .wavefront_size: 32
  - .args:
      - .offset:         0
        .size:           96
        .value_kind:     by_value
    .group_segment_fixed_size: 0
    .kernarg_segment_align: 8
    .kernarg_segment_size: 96
    .language:       OpenCL C
    .language_version:
      - 2
      - 0
    .max_flat_workgroup_size: 256
    .name:           _ZN7rocprim17ROCPRIM_400000_NS6detail17trampoline_kernelINS0_14default_configENS1_20scan_config_selectorIjEEZZNS1_9scan_implILNS1_25lookback_scan_determinismE0ELb1ELb1ES3_PjS8_jN6hipcub16HIPCUB_304000_NS3SumEjEEDaPvRmT3_T4_T5_mT6_P12ihipStream_tbENKUlT_T0_E_clISt17integral_constantIbLb1EESO_IbLb0EEEEDaSK_SL_EUlSK_E_NS1_11comp_targetILNS1_3genE5ELNS1_11target_archE942ELNS1_3gpuE9ELNS1_3repE0EEENS1_30default_config_static_selectorELNS0_4arch9wavefront6targetE0EEEvT1_
    .private_segment_fixed_size: 0
    .sgpr_count:     0
    .sgpr_spill_count: 0
    .symbol:         _ZN7rocprim17ROCPRIM_400000_NS6detail17trampoline_kernelINS0_14default_configENS1_20scan_config_selectorIjEEZZNS1_9scan_implILNS1_25lookback_scan_determinismE0ELb1ELb1ES3_PjS8_jN6hipcub16HIPCUB_304000_NS3SumEjEEDaPvRmT3_T4_T5_mT6_P12ihipStream_tbENKUlT_T0_E_clISt17integral_constantIbLb1EESO_IbLb0EEEEDaSK_SL_EUlSK_E_NS1_11comp_targetILNS1_3genE5ELNS1_11target_archE942ELNS1_3gpuE9ELNS1_3repE0EEENS1_30default_config_static_selectorELNS0_4arch9wavefront6targetE0EEEvT1_.kd
    .uniform_work_group_size: 1
    .uses_dynamic_stack: false
    .vgpr_count:     0
    .vgpr_spill_count: 0
    .wavefront_size: 32
  - .args:
      - .offset:         0
        .size:           96
        .value_kind:     by_value
    .group_segment_fixed_size: 0
    .kernarg_segment_align: 8
    .kernarg_segment_size: 96
    .language:       OpenCL C
    .language_version:
      - 2
      - 0
    .max_flat_workgroup_size: 128
    .name:           _ZN7rocprim17ROCPRIM_400000_NS6detail17trampoline_kernelINS0_14default_configENS1_20scan_config_selectorIjEEZZNS1_9scan_implILNS1_25lookback_scan_determinismE0ELb1ELb1ES3_PjS8_jN6hipcub16HIPCUB_304000_NS3SumEjEEDaPvRmT3_T4_T5_mT6_P12ihipStream_tbENKUlT_T0_E_clISt17integral_constantIbLb1EESO_IbLb0EEEEDaSK_SL_EUlSK_E_NS1_11comp_targetILNS1_3genE4ELNS1_11target_archE910ELNS1_3gpuE8ELNS1_3repE0EEENS1_30default_config_static_selectorELNS0_4arch9wavefront6targetE0EEEvT1_
    .private_segment_fixed_size: 0
    .sgpr_count:     0
    .sgpr_spill_count: 0
    .symbol:         _ZN7rocprim17ROCPRIM_400000_NS6detail17trampoline_kernelINS0_14default_configENS1_20scan_config_selectorIjEEZZNS1_9scan_implILNS1_25lookback_scan_determinismE0ELb1ELb1ES3_PjS8_jN6hipcub16HIPCUB_304000_NS3SumEjEEDaPvRmT3_T4_T5_mT6_P12ihipStream_tbENKUlT_T0_E_clISt17integral_constantIbLb1EESO_IbLb0EEEEDaSK_SL_EUlSK_E_NS1_11comp_targetILNS1_3genE4ELNS1_11target_archE910ELNS1_3gpuE8ELNS1_3repE0EEENS1_30default_config_static_selectorELNS0_4arch9wavefront6targetE0EEEvT1_.kd
    .uniform_work_group_size: 1
    .uses_dynamic_stack: false
    .vgpr_count:     0
    .vgpr_spill_count: 0
    .wavefront_size: 32
  - .args:
      - .offset:         0
        .size:           96
        .value_kind:     by_value
    .group_segment_fixed_size: 0
    .kernarg_segment_align: 8
    .kernarg_segment_size: 96
    .language:       OpenCL C
    .language_version:
      - 2
      - 0
    .max_flat_workgroup_size: 256
    .name:           _ZN7rocprim17ROCPRIM_400000_NS6detail17trampoline_kernelINS0_14default_configENS1_20scan_config_selectorIjEEZZNS1_9scan_implILNS1_25lookback_scan_determinismE0ELb1ELb1ES3_PjS8_jN6hipcub16HIPCUB_304000_NS3SumEjEEDaPvRmT3_T4_T5_mT6_P12ihipStream_tbENKUlT_T0_E_clISt17integral_constantIbLb1EESO_IbLb0EEEEDaSK_SL_EUlSK_E_NS1_11comp_targetILNS1_3genE3ELNS1_11target_archE908ELNS1_3gpuE7ELNS1_3repE0EEENS1_30default_config_static_selectorELNS0_4arch9wavefront6targetE0EEEvT1_
    .private_segment_fixed_size: 0
    .sgpr_count:     0
    .sgpr_spill_count: 0
    .symbol:         _ZN7rocprim17ROCPRIM_400000_NS6detail17trampoline_kernelINS0_14default_configENS1_20scan_config_selectorIjEEZZNS1_9scan_implILNS1_25lookback_scan_determinismE0ELb1ELb1ES3_PjS8_jN6hipcub16HIPCUB_304000_NS3SumEjEEDaPvRmT3_T4_T5_mT6_P12ihipStream_tbENKUlT_T0_E_clISt17integral_constantIbLb1EESO_IbLb0EEEEDaSK_SL_EUlSK_E_NS1_11comp_targetILNS1_3genE3ELNS1_11target_archE908ELNS1_3gpuE7ELNS1_3repE0EEENS1_30default_config_static_selectorELNS0_4arch9wavefront6targetE0EEEvT1_.kd
    .uniform_work_group_size: 1
    .uses_dynamic_stack: false
    .vgpr_count:     0
    .vgpr_spill_count: 0
    .wavefront_size: 32
  - .args:
      - .offset:         0
        .size:           96
        .value_kind:     by_value
    .group_segment_fixed_size: 0
    .kernarg_segment_align: 8
    .kernarg_segment_size: 96
    .language:       OpenCL C
    .language_version:
      - 2
      - 0
    .max_flat_workgroup_size: 256
    .name:           _ZN7rocprim17ROCPRIM_400000_NS6detail17trampoline_kernelINS0_14default_configENS1_20scan_config_selectorIjEEZZNS1_9scan_implILNS1_25lookback_scan_determinismE0ELb1ELb1ES3_PjS8_jN6hipcub16HIPCUB_304000_NS3SumEjEEDaPvRmT3_T4_T5_mT6_P12ihipStream_tbENKUlT_T0_E_clISt17integral_constantIbLb1EESO_IbLb0EEEEDaSK_SL_EUlSK_E_NS1_11comp_targetILNS1_3genE2ELNS1_11target_archE906ELNS1_3gpuE6ELNS1_3repE0EEENS1_30default_config_static_selectorELNS0_4arch9wavefront6targetE0EEEvT1_
    .private_segment_fixed_size: 0
    .sgpr_count:     0
    .sgpr_spill_count: 0
    .symbol:         _ZN7rocprim17ROCPRIM_400000_NS6detail17trampoline_kernelINS0_14default_configENS1_20scan_config_selectorIjEEZZNS1_9scan_implILNS1_25lookback_scan_determinismE0ELb1ELb1ES3_PjS8_jN6hipcub16HIPCUB_304000_NS3SumEjEEDaPvRmT3_T4_T5_mT6_P12ihipStream_tbENKUlT_T0_E_clISt17integral_constantIbLb1EESO_IbLb0EEEEDaSK_SL_EUlSK_E_NS1_11comp_targetILNS1_3genE2ELNS1_11target_archE906ELNS1_3gpuE6ELNS1_3repE0EEENS1_30default_config_static_selectorELNS0_4arch9wavefront6targetE0EEEvT1_.kd
    .uniform_work_group_size: 1
    .uses_dynamic_stack: false
    .vgpr_count:     0
    .vgpr_spill_count: 0
    .wavefront_size: 32
  - .args:
      - .offset:         0
        .size:           96
        .value_kind:     by_value
    .group_segment_fixed_size: 0
    .kernarg_segment_align: 8
    .kernarg_segment_size: 96
    .language:       OpenCL C
    .language_version:
      - 2
      - 0
    .max_flat_workgroup_size: 256
    .name:           _ZN7rocprim17ROCPRIM_400000_NS6detail17trampoline_kernelINS0_14default_configENS1_20scan_config_selectorIjEEZZNS1_9scan_implILNS1_25lookback_scan_determinismE0ELb1ELb1ES3_PjS8_jN6hipcub16HIPCUB_304000_NS3SumEjEEDaPvRmT3_T4_T5_mT6_P12ihipStream_tbENKUlT_T0_E_clISt17integral_constantIbLb1EESO_IbLb0EEEEDaSK_SL_EUlSK_E_NS1_11comp_targetILNS1_3genE10ELNS1_11target_archE1201ELNS1_3gpuE5ELNS1_3repE0EEENS1_30default_config_static_selectorELNS0_4arch9wavefront6targetE0EEEvT1_
    .private_segment_fixed_size: 0
    .sgpr_count:     0
    .sgpr_spill_count: 0
    .symbol:         _ZN7rocprim17ROCPRIM_400000_NS6detail17trampoline_kernelINS0_14default_configENS1_20scan_config_selectorIjEEZZNS1_9scan_implILNS1_25lookback_scan_determinismE0ELb1ELb1ES3_PjS8_jN6hipcub16HIPCUB_304000_NS3SumEjEEDaPvRmT3_T4_T5_mT6_P12ihipStream_tbENKUlT_T0_E_clISt17integral_constantIbLb1EESO_IbLb0EEEEDaSK_SL_EUlSK_E_NS1_11comp_targetILNS1_3genE10ELNS1_11target_archE1201ELNS1_3gpuE5ELNS1_3repE0EEENS1_30default_config_static_selectorELNS0_4arch9wavefront6targetE0EEEvT1_.kd
    .uniform_work_group_size: 1
    .uses_dynamic_stack: false
    .vgpr_count:     0
    .vgpr_spill_count: 0
    .wavefront_size: 32
  - .args:
      - .offset:         0
        .size:           96
        .value_kind:     by_value
    .group_segment_fixed_size: 0
    .kernarg_segment_align: 8
    .kernarg_segment_size: 96
    .language:       OpenCL C
    .language_version:
      - 2
      - 0
    .max_flat_workgroup_size: 256
    .name:           _ZN7rocprim17ROCPRIM_400000_NS6detail17trampoline_kernelINS0_14default_configENS1_20scan_config_selectorIjEEZZNS1_9scan_implILNS1_25lookback_scan_determinismE0ELb1ELb1ES3_PjS8_jN6hipcub16HIPCUB_304000_NS3SumEjEEDaPvRmT3_T4_T5_mT6_P12ihipStream_tbENKUlT_T0_E_clISt17integral_constantIbLb1EESO_IbLb0EEEEDaSK_SL_EUlSK_E_NS1_11comp_targetILNS1_3genE10ELNS1_11target_archE1200ELNS1_3gpuE4ELNS1_3repE0EEENS1_30default_config_static_selectorELNS0_4arch9wavefront6targetE0EEEvT1_
    .private_segment_fixed_size: 0
    .sgpr_count:     0
    .sgpr_spill_count: 0
    .symbol:         _ZN7rocprim17ROCPRIM_400000_NS6detail17trampoline_kernelINS0_14default_configENS1_20scan_config_selectorIjEEZZNS1_9scan_implILNS1_25lookback_scan_determinismE0ELb1ELb1ES3_PjS8_jN6hipcub16HIPCUB_304000_NS3SumEjEEDaPvRmT3_T4_T5_mT6_P12ihipStream_tbENKUlT_T0_E_clISt17integral_constantIbLb1EESO_IbLb0EEEEDaSK_SL_EUlSK_E_NS1_11comp_targetILNS1_3genE10ELNS1_11target_archE1200ELNS1_3gpuE4ELNS1_3repE0EEENS1_30default_config_static_selectorELNS0_4arch9wavefront6targetE0EEEvT1_.kd
    .uniform_work_group_size: 1
    .uses_dynamic_stack: false
    .vgpr_count:     0
    .vgpr_spill_count: 0
    .wavefront_size: 32
  - .args:
      - .offset:         0
        .size:           96
        .value_kind:     by_value
    .group_segment_fixed_size: 0
    .kernarg_segment_align: 8
    .kernarg_segment_size: 96
    .language:       OpenCL C
    .language_version:
      - 2
      - 0
    .max_flat_workgroup_size: 256
    .name:           _ZN7rocprim17ROCPRIM_400000_NS6detail17trampoline_kernelINS0_14default_configENS1_20scan_config_selectorIjEEZZNS1_9scan_implILNS1_25lookback_scan_determinismE0ELb1ELb1ES3_PjS8_jN6hipcub16HIPCUB_304000_NS3SumEjEEDaPvRmT3_T4_T5_mT6_P12ihipStream_tbENKUlT_T0_E_clISt17integral_constantIbLb1EESO_IbLb0EEEEDaSK_SL_EUlSK_E_NS1_11comp_targetILNS1_3genE9ELNS1_11target_archE1100ELNS1_3gpuE3ELNS1_3repE0EEENS1_30default_config_static_selectorELNS0_4arch9wavefront6targetE0EEEvT1_
    .private_segment_fixed_size: 0
    .sgpr_count:     0
    .sgpr_spill_count: 0
    .symbol:         _ZN7rocprim17ROCPRIM_400000_NS6detail17trampoline_kernelINS0_14default_configENS1_20scan_config_selectorIjEEZZNS1_9scan_implILNS1_25lookback_scan_determinismE0ELb1ELb1ES3_PjS8_jN6hipcub16HIPCUB_304000_NS3SumEjEEDaPvRmT3_T4_T5_mT6_P12ihipStream_tbENKUlT_T0_E_clISt17integral_constantIbLb1EESO_IbLb0EEEEDaSK_SL_EUlSK_E_NS1_11comp_targetILNS1_3genE9ELNS1_11target_archE1100ELNS1_3gpuE3ELNS1_3repE0EEENS1_30default_config_static_selectorELNS0_4arch9wavefront6targetE0EEEvT1_.kd
    .uniform_work_group_size: 1
    .uses_dynamic_stack: false
    .vgpr_count:     0
    .vgpr_spill_count: 0
    .wavefront_size: 32
  - .args:
      - .offset:         0
        .size:           96
        .value_kind:     by_value
    .group_segment_fixed_size: 0
    .kernarg_segment_align: 8
    .kernarg_segment_size: 96
    .language:       OpenCL C
    .language_version:
      - 2
      - 0
    .max_flat_workgroup_size: 64
    .name:           _ZN7rocprim17ROCPRIM_400000_NS6detail17trampoline_kernelINS0_14default_configENS1_20scan_config_selectorIjEEZZNS1_9scan_implILNS1_25lookback_scan_determinismE0ELb1ELb1ES3_PjS8_jN6hipcub16HIPCUB_304000_NS3SumEjEEDaPvRmT3_T4_T5_mT6_P12ihipStream_tbENKUlT_T0_E_clISt17integral_constantIbLb1EESO_IbLb0EEEEDaSK_SL_EUlSK_E_NS1_11comp_targetILNS1_3genE8ELNS1_11target_archE1030ELNS1_3gpuE2ELNS1_3repE0EEENS1_30default_config_static_selectorELNS0_4arch9wavefront6targetE0EEEvT1_
    .private_segment_fixed_size: 0
    .sgpr_count:     0
    .sgpr_spill_count: 0
    .symbol:         _ZN7rocprim17ROCPRIM_400000_NS6detail17trampoline_kernelINS0_14default_configENS1_20scan_config_selectorIjEEZZNS1_9scan_implILNS1_25lookback_scan_determinismE0ELb1ELb1ES3_PjS8_jN6hipcub16HIPCUB_304000_NS3SumEjEEDaPvRmT3_T4_T5_mT6_P12ihipStream_tbENKUlT_T0_E_clISt17integral_constantIbLb1EESO_IbLb0EEEEDaSK_SL_EUlSK_E_NS1_11comp_targetILNS1_3genE8ELNS1_11target_archE1030ELNS1_3gpuE2ELNS1_3repE0EEENS1_30default_config_static_selectorELNS0_4arch9wavefront6targetE0EEEvT1_.kd
    .uniform_work_group_size: 1
    .uses_dynamic_stack: false
    .vgpr_count:     0
    .vgpr_spill_count: 0
    .wavefront_size: 32
  - .args:
      - .offset:         0
        .size:           32
        .value_kind:     by_value
    .group_segment_fixed_size: 14336
    .kernarg_segment_align: 8
    .kernarg_segment_size: 32
    .language:       OpenCL C
    .language_version:
      - 2
      - 0
    .max_flat_workgroup_size: 256
    .name:           _ZN7rocprim17ROCPRIM_400000_NS6detail17trampoline_kernelINS0_14default_configENS1_20scan_config_selectorIjEEZZNS1_9scan_implILNS1_25lookback_scan_determinismE0ELb1ELb1ES3_PjS8_jN6hipcub16HIPCUB_304000_NS3SumEjEEDaPvRmT3_T4_T5_mT6_P12ihipStream_tbENKUlT_T0_E_clISt17integral_constantIbLb1EESO_IbLb0EEEEDaSK_SL_EUlSK_E0_NS1_11comp_targetILNS1_3genE0ELNS1_11target_archE4294967295ELNS1_3gpuE0ELNS1_3repE0EEENS1_30default_config_static_selectorELNS0_4arch9wavefront6targetE0EEEvT1_
    .private_segment_fixed_size: 0
    .sgpr_count:     22
    .sgpr_spill_count: 0
    .symbol:         _ZN7rocprim17ROCPRIM_400000_NS6detail17trampoline_kernelINS0_14default_configENS1_20scan_config_selectorIjEEZZNS1_9scan_implILNS1_25lookback_scan_determinismE0ELb1ELb1ES3_PjS8_jN6hipcub16HIPCUB_304000_NS3SumEjEEDaPvRmT3_T4_T5_mT6_P12ihipStream_tbENKUlT_T0_E_clISt17integral_constantIbLb1EESO_IbLb0EEEEDaSK_SL_EUlSK_E0_NS1_11comp_targetILNS1_3genE0ELNS1_11target_archE4294967295ELNS1_3gpuE0ELNS1_3repE0EEENS1_30default_config_static_selectorELNS0_4arch9wavefront6targetE0EEEvT1_.kd
    .uniform_work_group_size: 1
    .uses_dynamic_stack: false
    .vgpr_count:     22
    .vgpr_spill_count: 0
    .wavefront_size: 32
  - .args:
      - .offset:         0
        .size:           32
        .value_kind:     by_value
    .group_segment_fixed_size: 0
    .kernarg_segment_align: 8
    .kernarg_segment_size: 32
    .language:       OpenCL C
    .language_version:
      - 2
      - 0
    .max_flat_workgroup_size: 256
    .name:           _ZN7rocprim17ROCPRIM_400000_NS6detail17trampoline_kernelINS0_14default_configENS1_20scan_config_selectorIjEEZZNS1_9scan_implILNS1_25lookback_scan_determinismE0ELb1ELb1ES3_PjS8_jN6hipcub16HIPCUB_304000_NS3SumEjEEDaPvRmT3_T4_T5_mT6_P12ihipStream_tbENKUlT_T0_E_clISt17integral_constantIbLb1EESO_IbLb0EEEEDaSK_SL_EUlSK_E0_NS1_11comp_targetILNS1_3genE5ELNS1_11target_archE942ELNS1_3gpuE9ELNS1_3repE0EEENS1_30default_config_static_selectorELNS0_4arch9wavefront6targetE0EEEvT1_
    .private_segment_fixed_size: 0
    .sgpr_count:     0
    .sgpr_spill_count: 0
    .symbol:         _ZN7rocprim17ROCPRIM_400000_NS6detail17trampoline_kernelINS0_14default_configENS1_20scan_config_selectorIjEEZZNS1_9scan_implILNS1_25lookback_scan_determinismE0ELb1ELb1ES3_PjS8_jN6hipcub16HIPCUB_304000_NS3SumEjEEDaPvRmT3_T4_T5_mT6_P12ihipStream_tbENKUlT_T0_E_clISt17integral_constantIbLb1EESO_IbLb0EEEEDaSK_SL_EUlSK_E0_NS1_11comp_targetILNS1_3genE5ELNS1_11target_archE942ELNS1_3gpuE9ELNS1_3repE0EEENS1_30default_config_static_selectorELNS0_4arch9wavefront6targetE0EEEvT1_.kd
    .uniform_work_group_size: 1
    .uses_dynamic_stack: false
    .vgpr_count:     0
    .vgpr_spill_count: 0
    .wavefront_size: 32
  - .args:
      - .offset:         0
        .size:           32
        .value_kind:     by_value
    .group_segment_fixed_size: 0
    .kernarg_segment_align: 8
    .kernarg_segment_size: 32
    .language:       OpenCL C
    .language_version:
      - 2
      - 0
    .max_flat_workgroup_size: 128
    .name:           _ZN7rocprim17ROCPRIM_400000_NS6detail17trampoline_kernelINS0_14default_configENS1_20scan_config_selectorIjEEZZNS1_9scan_implILNS1_25lookback_scan_determinismE0ELb1ELb1ES3_PjS8_jN6hipcub16HIPCUB_304000_NS3SumEjEEDaPvRmT3_T4_T5_mT6_P12ihipStream_tbENKUlT_T0_E_clISt17integral_constantIbLb1EESO_IbLb0EEEEDaSK_SL_EUlSK_E0_NS1_11comp_targetILNS1_3genE4ELNS1_11target_archE910ELNS1_3gpuE8ELNS1_3repE0EEENS1_30default_config_static_selectorELNS0_4arch9wavefront6targetE0EEEvT1_
    .private_segment_fixed_size: 0
    .sgpr_count:     0
    .sgpr_spill_count: 0
    .symbol:         _ZN7rocprim17ROCPRIM_400000_NS6detail17trampoline_kernelINS0_14default_configENS1_20scan_config_selectorIjEEZZNS1_9scan_implILNS1_25lookback_scan_determinismE0ELb1ELb1ES3_PjS8_jN6hipcub16HIPCUB_304000_NS3SumEjEEDaPvRmT3_T4_T5_mT6_P12ihipStream_tbENKUlT_T0_E_clISt17integral_constantIbLb1EESO_IbLb0EEEEDaSK_SL_EUlSK_E0_NS1_11comp_targetILNS1_3genE4ELNS1_11target_archE910ELNS1_3gpuE8ELNS1_3repE0EEENS1_30default_config_static_selectorELNS0_4arch9wavefront6targetE0EEEvT1_.kd
    .uniform_work_group_size: 1
    .uses_dynamic_stack: false
    .vgpr_count:     0
    .vgpr_spill_count: 0
    .wavefront_size: 32
  - .args:
      - .offset:         0
        .size:           32
        .value_kind:     by_value
    .group_segment_fixed_size: 0
    .kernarg_segment_align: 8
    .kernarg_segment_size: 32
    .language:       OpenCL C
    .language_version:
      - 2
      - 0
    .max_flat_workgroup_size: 256
    .name:           _ZN7rocprim17ROCPRIM_400000_NS6detail17trampoline_kernelINS0_14default_configENS1_20scan_config_selectorIjEEZZNS1_9scan_implILNS1_25lookback_scan_determinismE0ELb1ELb1ES3_PjS8_jN6hipcub16HIPCUB_304000_NS3SumEjEEDaPvRmT3_T4_T5_mT6_P12ihipStream_tbENKUlT_T0_E_clISt17integral_constantIbLb1EESO_IbLb0EEEEDaSK_SL_EUlSK_E0_NS1_11comp_targetILNS1_3genE3ELNS1_11target_archE908ELNS1_3gpuE7ELNS1_3repE0EEENS1_30default_config_static_selectorELNS0_4arch9wavefront6targetE0EEEvT1_
    .private_segment_fixed_size: 0
    .sgpr_count:     0
    .sgpr_spill_count: 0
    .symbol:         _ZN7rocprim17ROCPRIM_400000_NS6detail17trampoline_kernelINS0_14default_configENS1_20scan_config_selectorIjEEZZNS1_9scan_implILNS1_25lookback_scan_determinismE0ELb1ELb1ES3_PjS8_jN6hipcub16HIPCUB_304000_NS3SumEjEEDaPvRmT3_T4_T5_mT6_P12ihipStream_tbENKUlT_T0_E_clISt17integral_constantIbLb1EESO_IbLb0EEEEDaSK_SL_EUlSK_E0_NS1_11comp_targetILNS1_3genE3ELNS1_11target_archE908ELNS1_3gpuE7ELNS1_3repE0EEENS1_30default_config_static_selectorELNS0_4arch9wavefront6targetE0EEEvT1_.kd
    .uniform_work_group_size: 1
    .uses_dynamic_stack: false
    .vgpr_count:     0
    .vgpr_spill_count: 0
    .wavefront_size: 32
  - .args:
      - .offset:         0
        .size:           32
        .value_kind:     by_value
    .group_segment_fixed_size: 0
    .kernarg_segment_align: 8
    .kernarg_segment_size: 32
    .language:       OpenCL C
    .language_version:
      - 2
      - 0
    .max_flat_workgroup_size: 256
    .name:           _ZN7rocprim17ROCPRIM_400000_NS6detail17trampoline_kernelINS0_14default_configENS1_20scan_config_selectorIjEEZZNS1_9scan_implILNS1_25lookback_scan_determinismE0ELb1ELb1ES3_PjS8_jN6hipcub16HIPCUB_304000_NS3SumEjEEDaPvRmT3_T4_T5_mT6_P12ihipStream_tbENKUlT_T0_E_clISt17integral_constantIbLb1EESO_IbLb0EEEEDaSK_SL_EUlSK_E0_NS1_11comp_targetILNS1_3genE2ELNS1_11target_archE906ELNS1_3gpuE6ELNS1_3repE0EEENS1_30default_config_static_selectorELNS0_4arch9wavefront6targetE0EEEvT1_
    .private_segment_fixed_size: 0
    .sgpr_count:     0
    .sgpr_spill_count: 0
    .symbol:         _ZN7rocprim17ROCPRIM_400000_NS6detail17trampoline_kernelINS0_14default_configENS1_20scan_config_selectorIjEEZZNS1_9scan_implILNS1_25lookback_scan_determinismE0ELb1ELb1ES3_PjS8_jN6hipcub16HIPCUB_304000_NS3SumEjEEDaPvRmT3_T4_T5_mT6_P12ihipStream_tbENKUlT_T0_E_clISt17integral_constantIbLb1EESO_IbLb0EEEEDaSK_SL_EUlSK_E0_NS1_11comp_targetILNS1_3genE2ELNS1_11target_archE906ELNS1_3gpuE6ELNS1_3repE0EEENS1_30default_config_static_selectorELNS0_4arch9wavefront6targetE0EEEvT1_.kd
    .uniform_work_group_size: 1
    .uses_dynamic_stack: false
    .vgpr_count:     0
    .vgpr_spill_count: 0
    .wavefront_size: 32
  - .args:
      - .offset:         0
        .size:           32
        .value_kind:     by_value
    .group_segment_fixed_size: 0
    .kernarg_segment_align: 8
    .kernarg_segment_size: 32
    .language:       OpenCL C
    .language_version:
      - 2
      - 0
    .max_flat_workgroup_size: 256
    .name:           _ZN7rocprim17ROCPRIM_400000_NS6detail17trampoline_kernelINS0_14default_configENS1_20scan_config_selectorIjEEZZNS1_9scan_implILNS1_25lookback_scan_determinismE0ELb1ELb1ES3_PjS8_jN6hipcub16HIPCUB_304000_NS3SumEjEEDaPvRmT3_T4_T5_mT6_P12ihipStream_tbENKUlT_T0_E_clISt17integral_constantIbLb1EESO_IbLb0EEEEDaSK_SL_EUlSK_E0_NS1_11comp_targetILNS1_3genE10ELNS1_11target_archE1201ELNS1_3gpuE5ELNS1_3repE0EEENS1_30default_config_static_selectorELNS0_4arch9wavefront6targetE0EEEvT1_
    .private_segment_fixed_size: 0
    .sgpr_count:     0
    .sgpr_spill_count: 0
    .symbol:         _ZN7rocprim17ROCPRIM_400000_NS6detail17trampoline_kernelINS0_14default_configENS1_20scan_config_selectorIjEEZZNS1_9scan_implILNS1_25lookback_scan_determinismE0ELb1ELb1ES3_PjS8_jN6hipcub16HIPCUB_304000_NS3SumEjEEDaPvRmT3_T4_T5_mT6_P12ihipStream_tbENKUlT_T0_E_clISt17integral_constantIbLb1EESO_IbLb0EEEEDaSK_SL_EUlSK_E0_NS1_11comp_targetILNS1_3genE10ELNS1_11target_archE1201ELNS1_3gpuE5ELNS1_3repE0EEENS1_30default_config_static_selectorELNS0_4arch9wavefront6targetE0EEEvT1_.kd
    .uniform_work_group_size: 1
    .uses_dynamic_stack: false
    .vgpr_count:     0
    .vgpr_spill_count: 0
    .wavefront_size: 32
  - .args:
      - .offset:         0
        .size:           32
        .value_kind:     by_value
    .group_segment_fixed_size: 0
    .kernarg_segment_align: 8
    .kernarg_segment_size: 32
    .language:       OpenCL C
    .language_version:
      - 2
      - 0
    .max_flat_workgroup_size: 256
    .name:           _ZN7rocprim17ROCPRIM_400000_NS6detail17trampoline_kernelINS0_14default_configENS1_20scan_config_selectorIjEEZZNS1_9scan_implILNS1_25lookback_scan_determinismE0ELb1ELb1ES3_PjS8_jN6hipcub16HIPCUB_304000_NS3SumEjEEDaPvRmT3_T4_T5_mT6_P12ihipStream_tbENKUlT_T0_E_clISt17integral_constantIbLb1EESO_IbLb0EEEEDaSK_SL_EUlSK_E0_NS1_11comp_targetILNS1_3genE10ELNS1_11target_archE1200ELNS1_3gpuE4ELNS1_3repE0EEENS1_30default_config_static_selectorELNS0_4arch9wavefront6targetE0EEEvT1_
    .private_segment_fixed_size: 0
    .sgpr_count:     0
    .sgpr_spill_count: 0
    .symbol:         _ZN7rocprim17ROCPRIM_400000_NS6detail17trampoline_kernelINS0_14default_configENS1_20scan_config_selectorIjEEZZNS1_9scan_implILNS1_25lookback_scan_determinismE0ELb1ELb1ES3_PjS8_jN6hipcub16HIPCUB_304000_NS3SumEjEEDaPvRmT3_T4_T5_mT6_P12ihipStream_tbENKUlT_T0_E_clISt17integral_constantIbLb1EESO_IbLb0EEEEDaSK_SL_EUlSK_E0_NS1_11comp_targetILNS1_3genE10ELNS1_11target_archE1200ELNS1_3gpuE4ELNS1_3repE0EEENS1_30default_config_static_selectorELNS0_4arch9wavefront6targetE0EEEvT1_.kd
    .uniform_work_group_size: 1
    .uses_dynamic_stack: false
    .vgpr_count:     0
    .vgpr_spill_count: 0
    .wavefront_size: 32
  - .args:
      - .offset:         0
        .size:           32
        .value_kind:     by_value
    .group_segment_fixed_size: 0
    .kernarg_segment_align: 8
    .kernarg_segment_size: 32
    .language:       OpenCL C
    .language_version:
      - 2
      - 0
    .max_flat_workgroup_size: 256
    .name:           _ZN7rocprim17ROCPRIM_400000_NS6detail17trampoline_kernelINS0_14default_configENS1_20scan_config_selectorIjEEZZNS1_9scan_implILNS1_25lookback_scan_determinismE0ELb1ELb1ES3_PjS8_jN6hipcub16HIPCUB_304000_NS3SumEjEEDaPvRmT3_T4_T5_mT6_P12ihipStream_tbENKUlT_T0_E_clISt17integral_constantIbLb1EESO_IbLb0EEEEDaSK_SL_EUlSK_E0_NS1_11comp_targetILNS1_3genE9ELNS1_11target_archE1100ELNS1_3gpuE3ELNS1_3repE0EEENS1_30default_config_static_selectorELNS0_4arch9wavefront6targetE0EEEvT1_
    .private_segment_fixed_size: 0
    .sgpr_count:     0
    .sgpr_spill_count: 0
    .symbol:         _ZN7rocprim17ROCPRIM_400000_NS6detail17trampoline_kernelINS0_14default_configENS1_20scan_config_selectorIjEEZZNS1_9scan_implILNS1_25lookback_scan_determinismE0ELb1ELb1ES3_PjS8_jN6hipcub16HIPCUB_304000_NS3SumEjEEDaPvRmT3_T4_T5_mT6_P12ihipStream_tbENKUlT_T0_E_clISt17integral_constantIbLb1EESO_IbLb0EEEEDaSK_SL_EUlSK_E0_NS1_11comp_targetILNS1_3genE9ELNS1_11target_archE1100ELNS1_3gpuE3ELNS1_3repE0EEENS1_30default_config_static_selectorELNS0_4arch9wavefront6targetE0EEEvT1_.kd
    .uniform_work_group_size: 1
    .uses_dynamic_stack: false
    .vgpr_count:     0
    .vgpr_spill_count: 0
    .wavefront_size: 32
  - .args:
      - .offset:         0
        .size:           32
        .value_kind:     by_value
    .group_segment_fixed_size: 0
    .kernarg_segment_align: 8
    .kernarg_segment_size: 32
    .language:       OpenCL C
    .language_version:
      - 2
      - 0
    .max_flat_workgroup_size: 64
    .name:           _ZN7rocprim17ROCPRIM_400000_NS6detail17trampoline_kernelINS0_14default_configENS1_20scan_config_selectorIjEEZZNS1_9scan_implILNS1_25lookback_scan_determinismE0ELb1ELb1ES3_PjS8_jN6hipcub16HIPCUB_304000_NS3SumEjEEDaPvRmT3_T4_T5_mT6_P12ihipStream_tbENKUlT_T0_E_clISt17integral_constantIbLb1EESO_IbLb0EEEEDaSK_SL_EUlSK_E0_NS1_11comp_targetILNS1_3genE8ELNS1_11target_archE1030ELNS1_3gpuE2ELNS1_3repE0EEENS1_30default_config_static_selectorELNS0_4arch9wavefront6targetE0EEEvT1_
    .private_segment_fixed_size: 0
    .sgpr_count:     0
    .sgpr_spill_count: 0
    .symbol:         _ZN7rocprim17ROCPRIM_400000_NS6detail17trampoline_kernelINS0_14default_configENS1_20scan_config_selectorIjEEZZNS1_9scan_implILNS1_25lookback_scan_determinismE0ELb1ELb1ES3_PjS8_jN6hipcub16HIPCUB_304000_NS3SumEjEEDaPvRmT3_T4_T5_mT6_P12ihipStream_tbENKUlT_T0_E_clISt17integral_constantIbLb1EESO_IbLb0EEEEDaSK_SL_EUlSK_E0_NS1_11comp_targetILNS1_3genE8ELNS1_11target_archE1030ELNS1_3gpuE2ELNS1_3repE0EEENS1_30default_config_static_selectorELNS0_4arch9wavefront6targetE0EEEvT1_.kd
    .uniform_work_group_size: 1
    .uses_dynamic_stack: false
    .vgpr_count:     0
    .vgpr_spill_count: 0
    .wavefront_size: 32
  - .args:
      - .address_space:  global
        .offset:         0
        .size:           8
        .value_kind:     global_buffer
      - .offset:         8
        .size:           4
        .value_kind:     by_value
      - .address_space:  global
        .offset:         16
        .size:           8
        .value_kind:     global_buffer
      - .offset:         24
        .size:           4
        .value_kind:     by_value
      - .address_space:  global
        .offset:         32
        .size:           8
        .value_kind:     global_buffer
      - .offset:         40
        .size:           4
        .value_kind:     hidden_block_count_x
      - .offset:         44
        .size:           4
        .value_kind:     hidden_block_count_y
      - .offset:         48
        .size:           4
        .value_kind:     hidden_block_count_z
      - .offset:         52
        .size:           2
        .value_kind:     hidden_group_size_x
      - .offset:         54
        .size:           2
        .value_kind:     hidden_group_size_y
      - .offset:         56
        .size:           2
        .value_kind:     hidden_group_size_z
      - .offset:         58
        .size:           2
        .value_kind:     hidden_remainder_x
      - .offset:         60
        .size:           2
        .value_kind:     hidden_remainder_y
      - .offset:         62
        .size:           2
        .value_kind:     hidden_remainder_z
      - .offset:         80
        .size:           8
        .value_kind:     hidden_global_offset_x
      - .offset:         88
        .size:           8
        .value_kind:     hidden_global_offset_y
      - .offset:         96
        .size:           8
        .value_kind:     hidden_global_offset_z
      - .offset:         104
        .size:           2
        .value_kind:     hidden_grid_dims
    .group_segment_fixed_size: 0
    .kernarg_segment_align: 8
    .kernarg_segment_size: 296
    .language:       OpenCL C
    .language_version:
      - 2
      - 0
    .max_flat_workgroup_size: 256
    .name:           _ZN7rocprim17ROCPRIM_400000_NS6detail31init_lookback_scan_state_kernelINS1_19lookback_scan_stateIjLb0ELb1EEENS1_16block_id_wrapperIjLb1EEEEEvT_jT0_jPNS7_10value_typeE
    .private_segment_fixed_size: 0
    .sgpr_count:     13
    .sgpr_spill_count: 0
    .symbol:         _ZN7rocprim17ROCPRIM_400000_NS6detail31init_lookback_scan_state_kernelINS1_19lookback_scan_stateIjLb0ELb1EEENS1_16block_id_wrapperIjLb1EEEEEvT_jT0_jPNS7_10value_typeE.kd
    .uniform_work_group_size: 1
    .uses_dynamic_stack: false
    .vgpr_count:     5
    .vgpr_spill_count: 0
    .wavefront_size: 32
  - .args:
      - .offset:         0
        .size:           96
        .value_kind:     by_value
    .group_segment_fixed_size: 14336
    .kernarg_segment_align: 8
    .kernarg_segment_size: 96
    .language:       OpenCL C
    .language_version:
      - 2
      - 0
    .max_flat_workgroup_size: 256
    .name:           _ZN7rocprim17ROCPRIM_400000_NS6detail17trampoline_kernelINS0_14default_configENS1_20scan_config_selectorIjEEZZNS1_9scan_implILNS1_25lookback_scan_determinismE0ELb1ELb1ES3_PjS8_jN6hipcub16HIPCUB_304000_NS3SumEjEEDaPvRmT3_T4_T5_mT6_P12ihipStream_tbENKUlT_T0_E_clISt17integral_constantIbLb0EESO_IbLb1EEEEDaSK_SL_EUlSK_E_NS1_11comp_targetILNS1_3genE0ELNS1_11target_archE4294967295ELNS1_3gpuE0ELNS1_3repE0EEENS1_30default_config_static_selectorELNS0_4arch9wavefront6targetE0EEEvT1_
    .private_segment_fixed_size: 0
    .sgpr_count:     33
    .sgpr_spill_count: 0
    .symbol:         _ZN7rocprim17ROCPRIM_400000_NS6detail17trampoline_kernelINS0_14default_configENS1_20scan_config_selectorIjEEZZNS1_9scan_implILNS1_25lookback_scan_determinismE0ELb1ELb1ES3_PjS8_jN6hipcub16HIPCUB_304000_NS3SumEjEEDaPvRmT3_T4_T5_mT6_P12ihipStream_tbENKUlT_T0_E_clISt17integral_constantIbLb0EESO_IbLb1EEEEDaSK_SL_EUlSK_E_NS1_11comp_targetILNS1_3genE0ELNS1_11target_archE4294967295ELNS1_3gpuE0ELNS1_3repE0EEENS1_30default_config_static_selectorELNS0_4arch9wavefront6targetE0EEEvT1_.kd
    .uniform_work_group_size: 1
    .uses_dynamic_stack: false
    .vgpr_count:     43
    .vgpr_spill_count: 0
    .wavefront_size: 32
  - .args:
      - .offset:         0
        .size:           96
        .value_kind:     by_value
    .group_segment_fixed_size: 0
    .kernarg_segment_align: 8
    .kernarg_segment_size: 96
    .language:       OpenCL C
    .language_version:
      - 2
      - 0
    .max_flat_workgroup_size: 256
    .name:           _ZN7rocprim17ROCPRIM_400000_NS6detail17trampoline_kernelINS0_14default_configENS1_20scan_config_selectorIjEEZZNS1_9scan_implILNS1_25lookback_scan_determinismE0ELb1ELb1ES3_PjS8_jN6hipcub16HIPCUB_304000_NS3SumEjEEDaPvRmT3_T4_T5_mT6_P12ihipStream_tbENKUlT_T0_E_clISt17integral_constantIbLb0EESO_IbLb1EEEEDaSK_SL_EUlSK_E_NS1_11comp_targetILNS1_3genE5ELNS1_11target_archE942ELNS1_3gpuE9ELNS1_3repE0EEENS1_30default_config_static_selectorELNS0_4arch9wavefront6targetE0EEEvT1_
    .private_segment_fixed_size: 0
    .sgpr_count:     0
    .sgpr_spill_count: 0
    .symbol:         _ZN7rocprim17ROCPRIM_400000_NS6detail17trampoline_kernelINS0_14default_configENS1_20scan_config_selectorIjEEZZNS1_9scan_implILNS1_25lookback_scan_determinismE0ELb1ELb1ES3_PjS8_jN6hipcub16HIPCUB_304000_NS3SumEjEEDaPvRmT3_T4_T5_mT6_P12ihipStream_tbENKUlT_T0_E_clISt17integral_constantIbLb0EESO_IbLb1EEEEDaSK_SL_EUlSK_E_NS1_11comp_targetILNS1_3genE5ELNS1_11target_archE942ELNS1_3gpuE9ELNS1_3repE0EEENS1_30default_config_static_selectorELNS0_4arch9wavefront6targetE0EEEvT1_.kd
    .uniform_work_group_size: 1
    .uses_dynamic_stack: false
    .vgpr_count:     0
    .vgpr_spill_count: 0
    .wavefront_size: 32
  - .args:
      - .offset:         0
        .size:           96
        .value_kind:     by_value
    .group_segment_fixed_size: 0
    .kernarg_segment_align: 8
    .kernarg_segment_size: 96
    .language:       OpenCL C
    .language_version:
      - 2
      - 0
    .max_flat_workgroup_size: 128
    .name:           _ZN7rocprim17ROCPRIM_400000_NS6detail17trampoline_kernelINS0_14default_configENS1_20scan_config_selectorIjEEZZNS1_9scan_implILNS1_25lookback_scan_determinismE0ELb1ELb1ES3_PjS8_jN6hipcub16HIPCUB_304000_NS3SumEjEEDaPvRmT3_T4_T5_mT6_P12ihipStream_tbENKUlT_T0_E_clISt17integral_constantIbLb0EESO_IbLb1EEEEDaSK_SL_EUlSK_E_NS1_11comp_targetILNS1_3genE4ELNS1_11target_archE910ELNS1_3gpuE8ELNS1_3repE0EEENS1_30default_config_static_selectorELNS0_4arch9wavefront6targetE0EEEvT1_
    .private_segment_fixed_size: 0
    .sgpr_count:     0
    .sgpr_spill_count: 0
    .symbol:         _ZN7rocprim17ROCPRIM_400000_NS6detail17trampoline_kernelINS0_14default_configENS1_20scan_config_selectorIjEEZZNS1_9scan_implILNS1_25lookback_scan_determinismE0ELb1ELb1ES3_PjS8_jN6hipcub16HIPCUB_304000_NS3SumEjEEDaPvRmT3_T4_T5_mT6_P12ihipStream_tbENKUlT_T0_E_clISt17integral_constantIbLb0EESO_IbLb1EEEEDaSK_SL_EUlSK_E_NS1_11comp_targetILNS1_3genE4ELNS1_11target_archE910ELNS1_3gpuE8ELNS1_3repE0EEENS1_30default_config_static_selectorELNS0_4arch9wavefront6targetE0EEEvT1_.kd
    .uniform_work_group_size: 1
    .uses_dynamic_stack: false
    .vgpr_count:     0
    .vgpr_spill_count: 0
    .wavefront_size: 32
  - .args:
      - .offset:         0
        .size:           96
        .value_kind:     by_value
    .group_segment_fixed_size: 0
    .kernarg_segment_align: 8
    .kernarg_segment_size: 96
    .language:       OpenCL C
    .language_version:
      - 2
      - 0
    .max_flat_workgroup_size: 256
    .name:           _ZN7rocprim17ROCPRIM_400000_NS6detail17trampoline_kernelINS0_14default_configENS1_20scan_config_selectorIjEEZZNS1_9scan_implILNS1_25lookback_scan_determinismE0ELb1ELb1ES3_PjS8_jN6hipcub16HIPCUB_304000_NS3SumEjEEDaPvRmT3_T4_T5_mT6_P12ihipStream_tbENKUlT_T0_E_clISt17integral_constantIbLb0EESO_IbLb1EEEEDaSK_SL_EUlSK_E_NS1_11comp_targetILNS1_3genE3ELNS1_11target_archE908ELNS1_3gpuE7ELNS1_3repE0EEENS1_30default_config_static_selectorELNS0_4arch9wavefront6targetE0EEEvT1_
    .private_segment_fixed_size: 0
    .sgpr_count:     0
    .sgpr_spill_count: 0
    .symbol:         _ZN7rocprim17ROCPRIM_400000_NS6detail17trampoline_kernelINS0_14default_configENS1_20scan_config_selectorIjEEZZNS1_9scan_implILNS1_25lookback_scan_determinismE0ELb1ELb1ES3_PjS8_jN6hipcub16HIPCUB_304000_NS3SumEjEEDaPvRmT3_T4_T5_mT6_P12ihipStream_tbENKUlT_T0_E_clISt17integral_constantIbLb0EESO_IbLb1EEEEDaSK_SL_EUlSK_E_NS1_11comp_targetILNS1_3genE3ELNS1_11target_archE908ELNS1_3gpuE7ELNS1_3repE0EEENS1_30default_config_static_selectorELNS0_4arch9wavefront6targetE0EEEvT1_.kd
    .uniform_work_group_size: 1
    .uses_dynamic_stack: false
    .vgpr_count:     0
    .vgpr_spill_count: 0
    .wavefront_size: 32
  - .args:
      - .offset:         0
        .size:           96
        .value_kind:     by_value
    .group_segment_fixed_size: 0
    .kernarg_segment_align: 8
    .kernarg_segment_size: 96
    .language:       OpenCL C
    .language_version:
      - 2
      - 0
    .max_flat_workgroup_size: 256
    .name:           _ZN7rocprim17ROCPRIM_400000_NS6detail17trampoline_kernelINS0_14default_configENS1_20scan_config_selectorIjEEZZNS1_9scan_implILNS1_25lookback_scan_determinismE0ELb1ELb1ES3_PjS8_jN6hipcub16HIPCUB_304000_NS3SumEjEEDaPvRmT3_T4_T5_mT6_P12ihipStream_tbENKUlT_T0_E_clISt17integral_constantIbLb0EESO_IbLb1EEEEDaSK_SL_EUlSK_E_NS1_11comp_targetILNS1_3genE2ELNS1_11target_archE906ELNS1_3gpuE6ELNS1_3repE0EEENS1_30default_config_static_selectorELNS0_4arch9wavefront6targetE0EEEvT1_
    .private_segment_fixed_size: 0
    .sgpr_count:     0
    .sgpr_spill_count: 0
    .symbol:         _ZN7rocprim17ROCPRIM_400000_NS6detail17trampoline_kernelINS0_14default_configENS1_20scan_config_selectorIjEEZZNS1_9scan_implILNS1_25lookback_scan_determinismE0ELb1ELb1ES3_PjS8_jN6hipcub16HIPCUB_304000_NS3SumEjEEDaPvRmT3_T4_T5_mT6_P12ihipStream_tbENKUlT_T0_E_clISt17integral_constantIbLb0EESO_IbLb1EEEEDaSK_SL_EUlSK_E_NS1_11comp_targetILNS1_3genE2ELNS1_11target_archE906ELNS1_3gpuE6ELNS1_3repE0EEENS1_30default_config_static_selectorELNS0_4arch9wavefront6targetE0EEEvT1_.kd
    .uniform_work_group_size: 1
    .uses_dynamic_stack: false
    .vgpr_count:     0
    .vgpr_spill_count: 0
    .wavefront_size: 32
  - .args:
      - .offset:         0
        .size:           96
        .value_kind:     by_value
    .group_segment_fixed_size: 0
    .kernarg_segment_align: 8
    .kernarg_segment_size: 96
    .language:       OpenCL C
    .language_version:
      - 2
      - 0
    .max_flat_workgroup_size: 256
    .name:           _ZN7rocprim17ROCPRIM_400000_NS6detail17trampoline_kernelINS0_14default_configENS1_20scan_config_selectorIjEEZZNS1_9scan_implILNS1_25lookback_scan_determinismE0ELb1ELb1ES3_PjS8_jN6hipcub16HIPCUB_304000_NS3SumEjEEDaPvRmT3_T4_T5_mT6_P12ihipStream_tbENKUlT_T0_E_clISt17integral_constantIbLb0EESO_IbLb1EEEEDaSK_SL_EUlSK_E_NS1_11comp_targetILNS1_3genE10ELNS1_11target_archE1201ELNS1_3gpuE5ELNS1_3repE0EEENS1_30default_config_static_selectorELNS0_4arch9wavefront6targetE0EEEvT1_
    .private_segment_fixed_size: 0
    .sgpr_count:     0
    .sgpr_spill_count: 0
    .symbol:         _ZN7rocprim17ROCPRIM_400000_NS6detail17trampoline_kernelINS0_14default_configENS1_20scan_config_selectorIjEEZZNS1_9scan_implILNS1_25lookback_scan_determinismE0ELb1ELb1ES3_PjS8_jN6hipcub16HIPCUB_304000_NS3SumEjEEDaPvRmT3_T4_T5_mT6_P12ihipStream_tbENKUlT_T0_E_clISt17integral_constantIbLb0EESO_IbLb1EEEEDaSK_SL_EUlSK_E_NS1_11comp_targetILNS1_3genE10ELNS1_11target_archE1201ELNS1_3gpuE5ELNS1_3repE0EEENS1_30default_config_static_selectorELNS0_4arch9wavefront6targetE0EEEvT1_.kd
    .uniform_work_group_size: 1
    .uses_dynamic_stack: false
    .vgpr_count:     0
    .vgpr_spill_count: 0
    .wavefront_size: 32
  - .args:
      - .offset:         0
        .size:           96
        .value_kind:     by_value
    .group_segment_fixed_size: 0
    .kernarg_segment_align: 8
    .kernarg_segment_size: 96
    .language:       OpenCL C
    .language_version:
      - 2
      - 0
    .max_flat_workgroup_size: 256
    .name:           _ZN7rocprim17ROCPRIM_400000_NS6detail17trampoline_kernelINS0_14default_configENS1_20scan_config_selectorIjEEZZNS1_9scan_implILNS1_25lookback_scan_determinismE0ELb1ELb1ES3_PjS8_jN6hipcub16HIPCUB_304000_NS3SumEjEEDaPvRmT3_T4_T5_mT6_P12ihipStream_tbENKUlT_T0_E_clISt17integral_constantIbLb0EESO_IbLb1EEEEDaSK_SL_EUlSK_E_NS1_11comp_targetILNS1_3genE10ELNS1_11target_archE1200ELNS1_3gpuE4ELNS1_3repE0EEENS1_30default_config_static_selectorELNS0_4arch9wavefront6targetE0EEEvT1_
    .private_segment_fixed_size: 0
    .sgpr_count:     0
    .sgpr_spill_count: 0
    .symbol:         _ZN7rocprim17ROCPRIM_400000_NS6detail17trampoline_kernelINS0_14default_configENS1_20scan_config_selectorIjEEZZNS1_9scan_implILNS1_25lookback_scan_determinismE0ELb1ELb1ES3_PjS8_jN6hipcub16HIPCUB_304000_NS3SumEjEEDaPvRmT3_T4_T5_mT6_P12ihipStream_tbENKUlT_T0_E_clISt17integral_constantIbLb0EESO_IbLb1EEEEDaSK_SL_EUlSK_E_NS1_11comp_targetILNS1_3genE10ELNS1_11target_archE1200ELNS1_3gpuE4ELNS1_3repE0EEENS1_30default_config_static_selectorELNS0_4arch9wavefront6targetE0EEEvT1_.kd
    .uniform_work_group_size: 1
    .uses_dynamic_stack: false
    .vgpr_count:     0
    .vgpr_spill_count: 0
    .wavefront_size: 32
  - .args:
      - .offset:         0
        .size:           96
        .value_kind:     by_value
    .group_segment_fixed_size: 0
    .kernarg_segment_align: 8
    .kernarg_segment_size: 96
    .language:       OpenCL C
    .language_version:
      - 2
      - 0
    .max_flat_workgroup_size: 256
    .name:           _ZN7rocprim17ROCPRIM_400000_NS6detail17trampoline_kernelINS0_14default_configENS1_20scan_config_selectorIjEEZZNS1_9scan_implILNS1_25lookback_scan_determinismE0ELb1ELb1ES3_PjS8_jN6hipcub16HIPCUB_304000_NS3SumEjEEDaPvRmT3_T4_T5_mT6_P12ihipStream_tbENKUlT_T0_E_clISt17integral_constantIbLb0EESO_IbLb1EEEEDaSK_SL_EUlSK_E_NS1_11comp_targetILNS1_3genE9ELNS1_11target_archE1100ELNS1_3gpuE3ELNS1_3repE0EEENS1_30default_config_static_selectorELNS0_4arch9wavefront6targetE0EEEvT1_
    .private_segment_fixed_size: 0
    .sgpr_count:     0
    .sgpr_spill_count: 0
    .symbol:         _ZN7rocprim17ROCPRIM_400000_NS6detail17trampoline_kernelINS0_14default_configENS1_20scan_config_selectorIjEEZZNS1_9scan_implILNS1_25lookback_scan_determinismE0ELb1ELb1ES3_PjS8_jN6hipcub16HIPCUB_304000_NS3SumEjEEDaPvRmT3_T4_T5_mT6_P12ihipStream_tbENKUlT_T0_E_clISt17integral_constantIbLb0EESO_IbLb1EEEEDaSK_SL_EUlSK_E_NS1_11comp_targetILNS1_3genE9ELNS1_11target_archE1100ELNS1_3gpuE3ELNS1_3repE0EEENS1_30default_config_static_selectorELNS0_4arch9wavefront6targetE0EEEvT1_.kd
    .uniform_work_group_size: 1
    .uses_dynamic_stack: false
    .vgpr_count:     0
    .vgpr_spill_count: 0
    .wavefront_size: 32
  - .args:
      - .offset:         0
        .size:           96
        .value_kind:     by_value
    .group_segment_fixed_size: 0
    .kernarg_segment_align: 8
    .kernarg_segment_size: 96
    .language:       OpenCL C
    .language_version:
      - 2
      - 0
    .max_flat_workgroup_size: 64
    .name:           _ZN7rocprim17ROCPRIM_400000_NS6detail17trampoline_kernelINS0_14default_configENS1_20scan_config_selectorIjEEZZNS1_9scan_implILNS1_25lookback_scan_determinismE0ELb1ELb1ES3_PjS8_jN6hipcub16HIPCUB_304000_NS3SumEjEEDaPvRmT3_T4_T5_mT6_P12ihipStream_tbENKUlT_T0_E_clISt17integral_constantIbLb0EESO_IbLb1EEEEDaSK_SL_EUlSK_E_NS1_11comp_targetILNS1_3genE8ELNS1_11target_archE1030ELNS1_3gpuE2ELNS1_3repE0EEENS1_30default_config_static_selectorELNS0_4arch9wavefront6targetE0EEEvT1_
    .private_segment_fixed_size: 0
    .sgpr_count:     0
    .sgpr_spill_count: 0
    .symbol:         _ZN7rocprim17ROCPRIM_400000_NS6detail17trampoline_kernelINS0_14default_configENS1_20scan_config_selectorIjEEZZNS1_9scan_implILNS1_25lookback_scan_determinismE0ELb1ELb1ES3_PjS8_jN6hipcub16HIPCUB_304000_NS3SumEjEEDaPvRmT3_T4_T5_mT6_P12ihipStream_tbENKUlT_T0_E_clISt17integral_constantIbLb0EESO_IbLb1EEEEDaSK_SL_EUlSK_E_NS1_11comp_targetILNS1_3genE8ELNS1_11target_archE1030ELNS1_3gpuE2ELNS1_3repE0EEENS1_30default_config_static_selectorELNS0_4arch9wavefront6targetE0EEEvT1_.kd
    .uniform_work_group_size: 1
    .uses_dynamic_stack: false
    .vgpr_count:     0
    .vgpr_spill_count: 0
    .wavefront_size: 32
  - .args:
      - .offset:         0
        .size:           32
        .value_kind:     by_value
    .group_segment_fixed_size: 14336
    .kernarg_segment_align: 8
    .kernarg_segment_size: 32
    .language:       OpenCL C
    .language_version:
      - 2
      - 0
    .max_flat_workgroup_size: 256
    .name:           _ZN7rocprim17ROCPRIM_400000_NS6detail17trampoline_kernelINS0_14default_configENS1_20scan_config_selectorIjEEZZNS1_9scan_implILNS1_25lookback_scan_determinismE0ELb1ELb1ES3_PjS8_jN6hipcub16HIPCUB_304000_NS3SumEjEEDaPvRmT3_T4_T5_mT6_P12ihipStream_tbENKUlT_T0_E_clISt17integral_constantIbLb0EESO_IbLb1EEEEDaSK_SL_EUlSK_E0_NS1_11comp_targetILNS1_3genE0ELNS1_11target_archE4294967295ELNS1_3gpuE0ELNS1_3repE0EEENS1_30default_config_static_selectorELNS0_4arch9wavefront6targetE0EEEvT1_
    .private_segment_fixed_size: 0
    .sgpr_count:     22
    .sgpr_spill_count: 0
    .symbol:         _ZN7rocprim17ROCPRIM_400000_NS6detail17trampoline_kernelINS0_14default_configENS1_20scan_config_selectorIjEEZZNS1_9scan_implILNS1_25lookback_scan_determinismE0ELb1ELb1ES3_PjS8_jN6hipcub16HIPCUB_304000_NS3SumEjEEDaPvRmT3_T4_T5_mT6_P12ihipStream_tbENKUlT_T0_E_clISt17integral_constantIbLb0EESO_IbLb1EEEEDaSK_SL_EUlSK_E0_NS1_11comp_targetILNS1_3genE0ELNS1_11target_archE4294967295ELNS1_3gpuE0ELNS1_3repE0EEENS1_30default_config_static_selectorELNS0_4arch9wavefront6targetE0EEEvT1_.kd
    .uniform_work_group_size: 1
    .uses_dynamic_stack: false
    .vgpr_count:     22
    .vgpr_spill_count: 0
    .wavefront_size: 32
  - .args:
      - .offset:         0
        .size:           32
        .value_kind:     by_value
    .group_segment_fixed_size: 0
    .kernarg_segment_align: 8
    .kernarg_segment_size: 32
    .language:       OpenCL C
    .language_version:
      - 2
      - 0
    .max_flat_workgroup_size: 256
    .name:           _ZN7rocprim17ROCPRIM_400000_NS6detail17trampoline_kernelINS0_14default_configENS1_20scan_config_selectorIjEEZZNS1_9scan_implILNS1_25lookback_scan_determinismE0ELb1ELb1ES3_PjS8_jN6hipcub16HIPCUB_304000_NS3SumEjEEDaPvRmT3_T4_T5_mT6_P12ihipStream_tbENKUlT_T0_E_clISt17integral_constantIbLb0EESO_IbLb1EEEEDaSK_SL_EUlSK_E0_NS1_11comp_targetILNS1_3genE5ELNS1_11target_archE942ELNS1_3gpuE9ELNS1_3repE0EEENS1_30default_config_static_selectorELNS0_4arch9wavefront6targetE0EEEvT1_
    .private_segment_fixed_size: 0
    .sgpr_count:     0
    .sgpr_spill_count: 0
    .symbol:         _ZN7rocprim17ROCPRIM_400000_NS6detail17trampoline_kernelINS0_14default_configENS1_20scan_config_selectorIjEEZZNS1_9scan_implILNS1_25lookback_scan_determinismE0ELb1ELb1ES3_PjS8_jN6hipcub16HIPCUB_304000_NS3SumEjEEDaPvRmT3_T4_T5_mT6_P12ihipStream_tbENKUlT_T0_E_clISt17integral_constantIbLb0EESO_IbLb1EEEEDaSK_SL_EUlSK_E0_NS1_11comp_targetILNS1_3genE5ELNS1_11target_archE942ELNS1_3gpuE9ELNS1_3repE0EEENS1_30default_config_static_selectorELNS0_4arch9wavefront6targetE0EEEvT1_.kd
    .uniform_work_group_size: 1
    .uses_dynamic_stack: false
    .vgpr_count:     0
    .vgpr_spill_count: 0
    .wavefront_size: 32
  - .args:
      - .offset:         0
        .size:           32
        .value_kind:     by_value
    .group_segment_fixed_size: 0
    .kernarg_segment_align: 8
    .kernarg_segment_size: 32
    .language:       OpenCL C
    .language_version:
      - 2
      - 0
    .max_flat_workgroup_size: 128
    .name:           _ZN7rocprim17ROCPRIM_400000_NS6detail17trampoline_kernelINS0_14default_configENS1_20scan_config_selectorIjEEZZNS1_9scan_implILNS1_25lookback_scan_determinismE0ELb1ELb1ES3_PjS8_jN6hipcub16HIPCUB_304000_NS3SumEjEEDaPvRmT3_T4_T5_mT6_P12ihipStream_tbENKUlT_T0_E_clISt17integral_constantIbLb0EESO_IbLb1EEEEDaSK_SL_EUlSK_E0_NS1_11comp_targetILNS1_3genE4ELNS1_11target_archE910ELNS1_3gpuE8ELNS1_3repE0EEENS1_30default_config_static_selectorELNS0_4arch9wavefront6targetE0EEEvT1_
    .private_segment_fixed_size: 0
    .sgpr_count:     0
    .sgpr_spill_count: 0
    .symbol:         _ZN7rocprim17ROCPRIM_400000_NS6detail17trampoline_kernelINS0_14default_configENS1_20scan_config_selectorIjEEZZNS1_9scan_implILNS1_25lookback_scan_determinismE0ELb1ELb1ES3_PjS8_jN6hipcub16HIPCUB_304000_NS3SumEjEEDaPvRmT3_T4_T5_mT6_P12ihipStream_tbENKUlT_T0_E_clISt17integral_constantIbLb0EESO_IbLb1EEEEDaSK_SL_EUlSK_E0_NS1_11comp_targetILNS1_3genE4ELNS1_11target_archE910ELNS1_3gpuE8ELNS1_3repE0EEENS1_30default_config_static_selectorELNS0_4arch9wavefront6targetE0EEEvT1_.kd
    .uniform_work_group_size: 1
    .uses_dynamic_stack: false
    .vgpr_count:     0
    .vgpr_spill_count: 0
    .wavefront_size: 32
  - .args:
      - .offset:         0
        .size:           32
        .value_kind:     by_value
    .group_segment_fixed_size: 0
    .kernarg_segment_align: 8
    .kernarg_segment_size: 32
    .language:       OpenCL C
    .language_version:
      - 2
      - 0
    .max_flat_workgroup_size: 256
    .name:           _ZN7rocprim17ROCPRIM_400000_NS6detail17trampoline_kernelINS0_14default_configENS1_20scan_config_selectorIjEEZZNS1_9scan_implILNS1_25lookback_scan_determinismE0ELb1ELb1ES3_PjS8_jN6hipcub16HIPCUB_304000_NS3SumEjEEDaPvRmT3_T4_T5_mT6_P12ihipStream_tbENKUlT_T0_E_clISt17integral_constantIbLb0EESO_IbLb1EEEEDaSK_SL_EUlSK_E0_NS1_11comp_targetILNS1_3genE3ELNS1_11target_archE908ELNS1_3gpuE7ELNS1_3repE0EEENS1_30default_config_static_selectorELNS0_4arch9wavefront6targetE0EEEvT1_
    .private_segment_fixed_size: 0
    .sgpr_count:     0
    .sgpr_spill_count: 0
    .symbol:         _ZN7rocprim17ROCPRIM_400000_NS6detail17trampoline_kernelINS0_14default_configENS1_20scan_config_selectorIjEEZZNS1_9scan_implILNS1_25lookback_scan_determinismE0ELb1ELb1ES3_PjS8_jN6hipcub16HIPCUB_304000_NS3SumEjEEDaPvRmT3_T4_T5_mT6_P12ihipStream_tbENKUlT_T0_E_clISt17integral_constantIbLb0EESO_IbLb1EEEEDaSK_SL_EUlSK_E0_NS1_11comp_targetILNS1_3genE3ELNS1_11target_archE908ELNS1_3gpuE7ELNS1_3repE0EEENS1_30default_config_static_selectorELNS0_4arch9wavefront6targetE0EEEvT1_.kd
    .uniform_work_group_size: 1
    .uses_dynamic_stack: false
    .vgpr_count:     0
    .vgpr_spill_count: 0
    .wavefront_size: 32
  - .args:
      - .offset:         0
        .size:           32
        .value_kind:     by_value
    .group_segment_fixed_size: 0
    .kernarg_segment_align: 8
    .kernarg_segment_size: 32
    .language:       OpenCL C
    .language_version:
      - 2
      - 0
    .max_flat_workgroup_size: 256
    .name:           _ZN7rocprim17ROCPRIM_400000_NS6detail17trampoline_kernelINS0_14default_configENS1_20scan_config_selectorIjEEZZNS1_9scan_implILNS1_25lookback_scan_determinismE0ELb1ELb1ES3_PjS8_jN6hipcub16HIPCUB_304000_NS3SumEjEEDaPvRmT3_T4_T5_mT6_P12ihipStream_tbENKUlT_T0_E_clISt17integral_constantIbLb0EESO_IbLb1EEEEDaSK_SL_EUlSK_E0_NS1_11comp_targetILNS1_3genE2ELNS1_11target_archE906ELNS1_3gpuE6ELNS1_3repE0EEENS1_30default_config_static_selectorELNS0_4arch9wavefront6targetE0EEEvT1_
    .private_segment_fixed_size: 0
    .sgpr_count:     0
    .sgpr_spill_count: 0
    .symbol:         _ZN7rocprim17ROCPRIM_400000_NS6detail17trampoline_kernelINS0_14default_configENS1_20scan_config_selectorIjEEZZNS1_9scan_implILNS1_25lookback_scan_determinismE0ELb1ELb1ES3_PjS8_jN6hipcub16HIPCUB_304000_NS3SumEjEEDaPvRmT3_T4_T5_mT6_P12ihipStream_tbENKUlT_T0_E_clISt17integral_constantIbLb0EESO_IbLb1EEEEDaSK_SL_EUlSK_E0_NS1_11comp_targetILNS1_3genE2ELNS1_11target_archE906ELNS1_3gpuE6ELNS1_3repE0EEENS1_30default_config_static_selectorELNS0_4arch9wavefront6targetE0EEEvT1_.kd
    .uniform_work_group_size: 1
    .uses_dynamic_stack: false
    .vgpr_count:     0
    .vgpr_spill_count: 0
    .wavefront_size: 32
  - .args:
      - .offset:         0
        .size:           32
        .value_kind:     by_value
    .group_segment_fixed_size: 0
    .kernarg_segment_align: 8
    .kernarg_segment_size: 32
    .language:       OpenCL C
    .language_version:
      - 2
      - 0
    .max_flat_workgroup_size: 256
    .name:           _ZN7rocprim17ROCPRIM_400000_NS6detail17trampoline_kernelINS0_14default_configENS1_20scan_config_selectorIjEEZZNS1_9scan_implILNS1_25lookback_scan_determinismE0ELb1ELb1ES3_PjS8_jN6hipcub16HIPCUB_304000_NS3SumEjEEDaPvRmT3_T4_T5_mT6_P12ihipStream_tbENKUlT_T0_E_clISt17integral_constantIbLb0EESO_IbLb1EEEEDaSK_SL_EUlSK_E0_NS1_11comp_targetILNS1_3genE10ELNS1_11target_archE1201ELNS1_3gpuE5ELNS1_3repE0EEENS1_30default_config_static_selectorELNS0_4arch9wavefront6targetE0EEEvT1_
    .private_segment_fixed_size: 0
    .sgpr_count:     0
    .sgpr_spill_count: 0
    .symbol:         _ZN7rocprim17ROCPRIM_400000_NS6detail17trampoline_kernelINS0_14default_configENS1_20scan_config_selectorIjEEZZNS1_9scan_implILNS1_25lookback_scan_determinismE0ELb1ELb1ES3_PjS8_jN6hipcub16HIPCUB_304000_NS3SumEjEEDaPvRmT3_T4_T5_mT6_P12ihipStream_tbENKUlT_T0_E_clISt17integral_constantIbLb0EESO_IbLb1EEEEDaSK_SL_EUlSK_E0_NS1_11comp_targetILNS1_3genE10ELNS1_11target_archE1201ELNS1_3gpuE5ELNS1_3repE0EEENS1_30default_config_static_selectorELNS0_4arch9wavefront6targetE0EEEvT1_.kd
    .uniform_work_group_size: 1
    .uses_dynamic_stack: false
    .vgpr_count:     0
    .vgpr_spill_count: 0
    .wavefront_size: 32
  - .args:
      - .offset:         0
        .size:           32
        .value_kind:     by_value
    .group_segment_fixed_size: 0
    .kernarg_segment_align: 8
    .kernarg_segment_size: 32
    .language:       OpenCL C
    .language_version:
      - 2
      - 0
    .max_flat_workgroup_size: 256
    .name:           _ZN7rocprim17ROCPRIM_400000_NS6detail17trampoline_kernelINS0_14default_configENS1_20scan_config_selectorIjEEZZNS1_9scan_implILNS1_25lookback_scan_determinismE0ELb1ELb1ES3_PjS8_jN6hipcub16HIPCUB_304000_NS3SumEjEEDaPvRmT3_T4_T5_mT6_P12ihipStream_tbENKUlT_T0_E_clISt17integral_constantIbLb0EESO_IbLb1EEEEDaSK_SL_EUlSK_E0_NS1_11comp_targetILNS1_3genE10ELNS1_11target_archE1200ELNS1_3gpuE4ELNS1_3repE0EEENS1_30default_config_static_selectorELNS0_4arch9wavefront6targetE0EEEvT1_
    .private_segment_fixed_size: 0
    .sgpr_count:     0
    .sgpr_spill_count: 0
    .symbol:         _ZN7rocprim17ROCPRIM_400000_NS6detail17trampoline_kernelINS0_14default_configENS1_20scan_config_selectorIjEEZZNS1_9scan_implILNS1_25lookback_scan_determinismE0ELb1ELb1ES3_PjS8_jN6hipcub16HIPCUB_304000_NS3SumEjEEDaPvRmT3_T4_T5_mT6_P12ihipStream_tbENKUlT_T0_E_clISt17integral_constantIbLb0EESO_IbLb1EEEEDaSK_SL_EUlSK_E0_NS1_11comp_targetILNS1_3genE10ELNS1_11target_archE1200ELNS1_3gpuE4ELNS1_3repE0EEENS1_30default_config_static_selectorELNS0_4arch9wavefront6targetE0EEEvT1_.kd
    .uniform_work_group_size: 1
    .uses_dynamic_stack: false
    .vgpr_count:     0
    .vgpr_spill_count: 0
    .wavefront_size: 32
  - .args:
      - .offset:         0
        .size:           32
        .value_kind:     by_value
    .group_segment_fixed_size: 0
    .kernarg_segment_align: 8
    .kernarg_segment_size: 32
    .language:       OpenCL C
    .language_version:
      - 2
      - 0
    .max_flat_workgroup_size: 256
    .name:           _ZN7rocprim17ROCPRIM_400000_NS6detail17trampoline_kernelINS0_14default_configENS1_20scan_config_selectorIjEEZZNS1_9scan_implILNS1_25lookback_scan_determinismE0ELb1ELb1ES3_PjS8_jN6hipcub16HIPCUB_304000_NS3SumEjEEDaPvRmT3_T4_T5_mT6_P12ihipStream_tbENKUlT_T0_E_clISt17integral_constantIbLb0EESO_IbLb1EEEEDaSK_SL_EUlSK_E0_NS1_11comp_targetILNS1_3genE9ELNS1_11target_archE1100ELNS1_3gpuE3ELNS1_3repE0EEENS1_30default_config_static_selectorELNS0_4arch9wavefront6targetE0EEEvT1_
    .private_segment_fixed_size: 0
    .sgpr_count:     0
    .sgpr_spill_count: 0
    .symbol:         _ZN7rocprim17ROCPRIM_400000_NS6detail17trampoline_kernelINS0_14default_configENS1_20scan_config_selectorIjEEZZNS1_9scan_implILNS1_25lookback_scan_determinismE0ELb1ELb1ES3_PjS8_jN6hipcub16HIPCUB_304000_NS3SumEjEEDaPvRmT3_T4_T5_mT6_P12ihipStream_tbENKUlT_T0_E_clISt17integral_constantIbLb0EESO_IbLb1EEEEDaSK_SL_EUlSK_E0_NS1_11comp_targetILNS1_3genE9ELNS1_11target_archE1100ELNS1_3gpuE3ELNS1_3repE0EEENS1_30default_config_static_selectorELNS0_4arch9wavefront6targetE0EEEvT1_.kd
    .uniform_work_group_size: 1
    .uses_dynamic_stack: false
    .vgpr_count:     0
    .vgpr_spill_count: 0
    .wavefront_size: 32
  - .args:
      - .offset:         0
        .size:           32
        .value_kind:     by_value
    .group_segment_fixed_size: 0
    .kernarg_segment_align: 8
    .kernarg_segment_size: 32
    .language:       OpenCL C
    .language_version:
      - 2
      - 0
    .max_flat_workgroup_size: 64
    .name:           _ZN7rocprim17ROCPRIM_400000_NS6detail17trampoline_kernelINS0_14default_configENS1_20scan_config_selectorIjEEZZNS1_9scan_implILNS1_25lookback_scan_determinismE0ELb1ELb1ES3_PjS8_jN6hipcub16HIPCUB_304000_NS3SumEjEEDaPvRmT3_T4_T5_mT6_P12ihipStream_tbENKUlT_T0_E_clISt17integral_constantIbLb0EESO_IbLb1EEEEDaSK_SL_EUlSK_E0_NS1_11comp_targetILNS1_3genE8ELNS1_11target_archE1030ELNS1_3gpuE2ELNS1_3repE0EEENS1_30default_config_static_selectorELNS0_4arch9wavefront6targetE0EEEvT1_
    .private_segment_fixed_size: 0
    .sgpr_count:     0
    .sgpr_spill_count: 0
    .symbol:         _ZN7rocprim17ROCPRIM_400000_NS6detail17trampoline_kernelINS0_14default_configENS1_20scan_config_selectorIjEEZZNS1_9scan_implILNS1_25lookback_scan_determinismE0ELb1ELb1ES3_PjS8_jN6hipcub16HIPCUB_304000_NS3SumEjEEDaPvRmT3_T4_T5_mT6_P12ihipStream_tbENKUlT_T0_E_clISt17integral_constantIbLb0EESO_IbLb1EEEEDaSK_SL_EUlSK_E0_NS1_11comp_targetILNS1_3genE8ELNS1_11target_archE1030ELNS1_3gpuE2ELNS1_3repE0EEENS1_30default_config_static_selectorELNS0_4arch9wavefront6targetE0EEEvT1_.kd
    .uniform_work_group_size: 1
    .uses_dynamic_stack: false
    .vgpr_count:     0
    .vgpr_spill_count: 0
    .wavefront_size: 32
  - .args:
      - .offset:         0
        .size:           4
        .value_kind:     by_value
      - .actual_access:  read_only
        .address_space:  global
        .offset:         8
        .size:           8
        .value_kind:     global_buffer
      - .actual_access:  read_only
        .address_space:  global
        .offset:         16
        .size:           8
        .value_kind:     global_buffer
      - .actual_access:  read_only
        .address_space:  global
        .offset:         24
        .size:           8
        .value_kind:     global_buffer
      - .actual_access:  read_only
        .address_space:  global
        .offset:         32
        .size:           8
        .value_kind:     global_buffer
      - .actual_access:  write_only
        .address_space:  global
        .offset:         40
        .size:           8
        .value_kind:     global_buffer
      - .actual_access:  write_only
        .address_space:  global
        .offset:         48
        .size:           8
        .value_kind:     global_buffer
    .group_segment_fixed_size: 0
    .kernarg_segment_align: 8
    .kernarg_segment_size: 56
    .language:       OpenCL C
    .language_version:
      - 2
      - 0
    .max_flat_workgroup_size: 1024
    .name:           _Z17compressKernelIIIIjEvjPKjS1_PKhS3_PhS4_
    .private_segment_fixed_size: 0
    .sgpr_count:     32
    .sgpr_spill_count: 0
    .symbol:         _Z17compressKernelIIIIjEvjPKjS1_PKhS3_PhS4_.kd
    .uniform_work_group_size: 1
    .uses_dynamic_stack: false
    .vgpr_count:     35
    .vgpr_spill_count: 0
    .wavefront_size: 32
  - .args:
      - .address_space:  global
        .offset:         0
        .size:           8
        .value_kind:     global_buffer
      - .offset:         8
        .size:           4
        .value_kind:     by_value
      - .actual_access:  read_only
        .address_space:  global
        .offset:         16
        .size:           8
        .value_kind:     global_buffer
      - .actual_access:  read_only
        .address_space:  global
        .offset:         24
        .size:           8
        .value_kind:     global_buffer
      - .actual_access:  read_only
        .address_space:  global
        .offset:         32
        .size:           8
        .value_kind:     global_buffer
      - .actual_access:  read_only
        .address_space:  global
        .offset:         40
        .size:           8
        .value_kind:     global_buffer
      - .offset:         48
        .size:           4
        .value_kind:     hidden_block_count_x
      - .offset:         52
        .size:           4
        .value_kind:     hidden_block_count_y
      - .offset:         56
        .size:           4
        .value_kind:     hidden_block_count_z
      - .offset:         60
        .size:           2
        .value_kind:     hidden_group_size_x
      - .offset:         62
        .size:           2
        .value_kind:     hidden_group_size_y
      - .offset:         64
        .size:           2
        .value_kind:     hidden_group_size_z
      - .offset:         66
        .size:           2
        .value_kind:     hidden_remainder_x
      - .offset:         68
        .size:           2
        .value_kind:     hidden_remainder_y
      - .offset:         70
        .size:           2
        .value_kind:     hidden_remainder_z
      - .offset:         88
        .size:           8
        .value_kind:     hidden_global_offset_x
      - .offset:         96
        .size:           8
        .value_kind:     hidden_global_offset_y
      - .offset:         104
        .size:           8
        .value_kind:     hidden_global_offset_z
      - .offset:         112
        .size:           2
        .value_kind:     hidden_grid_dims
    .group_segment_fixed_size: 0
    .kernarg_segment_align: 8
    .kernarg_segment_size: 304
    .language:       OpenCL C
    .language_version:
      - 2
      - 0
    .max_flat_workgroup_size: 1024
    .name:           _Z16decompressKernelIjEvPT_jPKjS3_PKhS5_
    .private_segment_fixed_size: 0
    .sgpr_count:     20
    .sgpr_spill_count: 0
    .symbol:         _Z16decompressKernelIjEvPT_jPKjS3_PKhS5_.kd
    .uniform_work_group_size: 1
    .uses_dynamic_stack: false
    .vgpr_count:     16
    .vgpr_spill_count: 0
    .wavefront_size: 32
amdhsa.target:   amdgcn-amd-amdhsa--gfx1250
amdhsa.version:
  - 1
  - 2
...

	.end_amdgpu_metadata
